;; amdgpu-corpus repo=ROCm/rocFFT kind=compiled arch=gfx1030 opt=O3
	.text
	.amdgcn_target "amdgcn-amd-amdhsa--gfx1030"
	.amdhsa_code_object_version 6
	.protected	fft_rtc_back_len2016_factors_2_2_2_2_2_3_3_7_wgs_224_tpt_112_halfLds_half_op_CI_CI_unitstride_sbrr_R2C_dirReg ; -- Begin function fft_rtc_back_len2016_factors_2_2_2_2_2_3_3_7_wgs_224_tpt_112_halfLds_half_op_CI_CI_unitstride_sbrr_R2C_dirReg
	.globl	fft_rtc_back_len2016_factors_2_2_2_2_2_3_3_7_wgs_224_tpt_112_halfLds_half_op_CI_CI_unitstride_sbrr_R2C_dirReg
	.p2align	8
	.type	fft_rtc_back_len2016_factors_2_2_2_2_2_3_3_7_wgs_224_tpt_112_halfLds_half_op_CI_CI_unitstride_sbrr_R2C_dirReg,@function
fft_rtc_back_len2016_factors_2_2_2_2_2_3_3_7_wgs_224_tpt_112_halfLds_half_op_CI_CI_unitstride_sbrr_R2C_dirReg: ; @fft_rtc_back_len2016_factors_2_2_2_2_2_3_3_7_wgs_224_tpt_112_halfLds_half_op_CI_CI_unitstride_sbrr_R2C_dirReg
; %bb.0:
	s_clause 0x2
	s_load_dwordx4 s[12:15], s[4:5], 0x0
	s_load_dwordx4 s[8:11], s[4:5], 0x58
	;; [unrolled: 1-line block ×3, first 2 shown]
	v_mul_u32_u24_e32 v1, 0x24a, v0
	v_mov_b32_e32 v3, 0
	v_mov_b32_e32 v22, 0
	;; [unrolled: 1-line block ×3, first 2 shown]
	v_lshrrev_b32_e32 v9, 16, v1
	v_mov_b32_e32 v8, v3
	v_lshl_add_u32 v7, s6, 1, v9
	s_waitcnt lgkmcnt(0)
	v_cmp_lt_u64_e64 s0, s[14:15], 2
	s_and_b32 vcc_lo, exec_lo, s0
	s_cbranch_vccnz .LBB0_8
; %bb.1:
	s_load_dwordx2 s[0:1], s[4:5], 0x10
	v_mov_b32_e32 v22, 0
	v_mov_b32_e32 v23, 0
	s_add_u32 s2, s18, 8
	s_addc_u32 s3, s19, 0
	v_mov_b32_e32 v1, v22
	s_add_u32 s6, s16, 8
	v_mov_b32_e32 v2, v23
	s_addc_u32 s7, s17, 0
	s_mov_b64 s[22:23], 1
	s_waitcnt lgkmcnt(0)
	s_add_u32 s20, s0, 8
	s_addc_u32 s21, s1, 0
.LBB0_2:                                ; =>This Inner Loop Header: Depth=1
	s_load_dwordx2 s[24:25], s[20:21], 0x0
                                        ; implicit-def: $vgpr5_vgpr6
	s_mov_b32 s0, exec_lo
	s_waitcnt lgkmcnt(0)
	v_or_b32_e32 v4, s25, v8
	v_cmpx_ne_u64_e32 0, v[3:4]
	s_xor_b32 s1, exec_lo, s0
	s_cbranch_execz .LBB0_4
; %bb.3:                                ;   in Loop: Header=BB0_2 Depth=1
	v_cvt_f32_u32_e32 v4, s24
	v_cvt_f32_u32_e32 v5, s25
	s_sub_u32 s0, 0, s24
	s_subb_u32 s26, 0, s25
	v_fmac_f32_e32 v4, 0x4f800000, v5
	v_rcp_f32_e32 v4, v4
	v_mul_f32_e32 v4, 0x5f7ffffc, v4
	v_mul_f32_e32 v5, 0x2f800000, v4
	v_trunc_f32_e32 v5, v5
	v_fmac_f32_e32 v4, 0xcf800000, v5
	v_cvt_u32_f32_e32 v5, v5
	v_cvt_u32_f32_e32 v4, v4
	v_mul_lo_u32 v6, s0, v5
	v_mul_hi_u32 v10, s0, v4
	v_mul_lo_u32 v11, s26, v4
	v_add_nc_u32_e32 v6, v10, v6
	v_mul_lo_u32 v10, s0, v4
	v_add_nc_u32_e32 v6, v6, v11
	v_mul_hi_u32 v11, v4, v10
	v_mul_lo_u32 v12, v4, v6
	v_mul_hi_u32 v13, v4, v6
	v_mul_hi_u32 v14, v5, v10
	v_mul_lo_u32 v10, v5, v10
	v_mul_hi_u32 v15, v5, v6
	v_mul_lo_u32 v6, v5, v6
	v_add_co_u32 v11, vcc_lo, v11, v12
	v_add_co_ci_u32_e32 v12, vcc_lo, 0, v13, vcc_lo
	v_add_co_u32 v10, vcc_lo, v11, v10
	v_add_co_ci_u32_e32 v10, vcc_lo, v12, v14, vcc_lo
	v_add_co_ci_u32_e32 v11, vcc_lo, 0, v15, vcc_lo
	v_add_co_u32 v6, vcc_lo, v10, v6
	v_add_co_ci_u32_e32 v10, vcc_lo, 0, v11, vcc_lo
	v_add_co_u32 v4, vcc_lo, v4, v6
	v_add_co_ci_u32_e32 v5, vcc_lo, v5, v10, vcc_lo
	v_mul_hi_u32 v6, s0, v4
	v_mul_lo_u32 v11, s26, v4
	v_mul_lo_u32 v10, s0, v5
	v_add_nc_u32_e32 v6, v6, v10
	v_mul_lo_u32 v10, s0, v4
	v_add_nc_u32_e32 v6, v6, v11
	v_mul_hi_u32 v11, v4, v10
	v_mul_lo_u32 v12, v4, v6
	v_mul_hi_u32 v13, v4, v6
	v_mul_hi_u32 v14, v5, v10
	v_mul_lo_u32 v10, v5, v10
	v_mul_hi_u32 v15, v5, v6
	v_mul_lo_u32 v6, v5, v6
	v_add_co_u32 v11, vcc_lo, v11, v12
	v_add_co_ci_u32_e32 v12, vcc_lo, 0, v13, vcc_lo
	v_add_co_u32 v10, vcc_lo, v11, v10
	v_add_co_ci_u32_e32 v10, vcc_lo, v12, v14, vcc_lo
	v_add_co_ci_u32_e32 v11, vcc_lo, 0, v15, vcc_lo
	v_add_co_u32 v6, vcc_lo, v10, v6
	v_add_co_ci_u32_e32 v10, vcc_lo, 0, v11, vcc_lo
	v_add_co_u32 v6, vcc_lo, v4, v6
	v_add_co_ci_u32_e32 v12, vcc_lo, v5, v10, vcc_lo
	v_mul_hi_u32 v14, v7, v6
	v_mad_u64_u32 v[10:11], null, v8, v6, 0
	v_mad_u64_u32 v[4:5], null, v7, v12, 0
	v_mad_u64_u32 v[12:13], null, v8, v12, 0
	v_add_co_u32 v4, vcc_lo, v14, v4
	v_add_co_ci_u32_e32 v5, vcc_lo, 0, v5, vcc_lo
	v_add_co_u32 v4, vcc_lo, v4, v10
	v_add_co_ci_u32_e32 v4, vcc_lo, v5, v11, vcc_lo
	v_add_co_ci_u32_e32 v5, vcc_lo, 0, v13, vcc_lo
	v_add_co_u32 v10, vcc_lo, v4, v12
	v_add_co_ci_u32_e32 v6, vcc_lo, 0, v5, vcc_lo
	v_mul_lo_u32 v11, s25, v10
	v_mad_u64_u32 v[4:5], null, s24, v10, 0
	v_mul_lo_u32 v12, s24, v6
	v_sub_co_u32 v4, vcc_lo, v7, v4
	v_add3_u32 v5, v5, v12, v11
	v_sub_nc_u32_e32 v11, v8, v5
	v_subrev_co_ci_u32_e64 v11, s0, s25, v11, vcc_lo
	v_add_co_u32 v12, s0, v10, 2
	v_add_co_ci_u32_e64 v13, s0, 0, v6, s0
	v_sub_co_u32 v14, s0, v4, s24
	v_sub_co_ci_u32_e32 v5, vcc_lo, v8, v5, vcc_lo
	v_subrev_co_ci_u32_e64 v11, s0, 0, v11, s0
	v_cmp_le_u32_e32 vcc_lo, s24, v14
	v_cmp_eq_u32_e64 s0, s25, v5
	v_cndmask_b32_e64 v14, 0, -1, vcc_lo
	v_cmp_le_u32_e32 vcc_lo, s25, v11
	v_cndmask_b32_e64 v15, 0, -1, vcc_lo
	v_cmp_le_u32_e32 vcc_lo, s24, v4
	;; [unrolled: 2-line block ×3, first 2 shown]
	v_cndmask_b32_e64 v16, 0, -1, vcc_lo
	v_cmp_eq_u32_e32 vcc_lo, s25, v11
	v_cndmask_b32_e64 v4, v16, v4, s0
	v_cndmask_b32_e32 v11, v15, v14, vcc_lo
	v_add_co_u32 v14, vcc_lo, v10, 1
	v_add_co_ci_u32_e32 v15, vcc_lo, 0, v6, vcc_lo
	v_cmp_ne_u32_e32 vcc_lo, 0, v11
	v_cndmask_b32_e32 v5, v15, v13, vcc_lo
	v_cndmask_b32_e32 v11, v14, v12, vcc_lo
	v_cmp_ne_u32_e32 vcc_lo, 0, v4
	v_cndmask_b32_e32 v6, v6, v5, vcc_lo
	v_cndmask_b32_e32 v5, v10, v11, vcc_lo
.LBB0_4:                                ;   in Loop: Header=BB0_2 Depth=1
	s_andn2_saveexec_b32 s0, s1
	s_cbranch_execz .LBB0_6
; %bb.5:                                ;   in Loop: Header=BB0_2 Depth=1
	v_cvt_f32_u32_e32 v4, s24
	s_sub_i32 s1, 0, s24
	v_rcp_iflag_f32_e32 v4, v4
	v_mul_f32_e32 v4, 0x4f7ffffe, v4
	v_cvt_u32_f32_e32 v4, v4
	v_mul_lo_u32 v5, s1, v4
	v_mul_hi_u32 v5, v4, v5
	v_add_nc_u32_e32 v4, v4, v5
	v_mul_hi_u32 v4, v7, v4
	v_mul_lo_u32 v5, v4, s24
	v_add_nc_u32_e32 v6, 1, v4
	v_sub_nc_u32_e32 v5, v7, v5
	v_subrev_nc_u32_e32 v10, s24, v5
	v_cmp_le_u32_e32 vcc_lo, s24, v5
	v_cndmask_b32_e32 v5, v5, v10, vcc_lo
	v_cndmask_b32_e32 v4, v4, v6, vcc_lo
	v_cmp_le_u32_e32 vcc_lo, s24, v5
	v_add_nc_u32_e32 v6, 1, v4
	v_cndmask_b32_e32 v5, v4, v6, vcc_lo
	v_mov_b32_e32 v6, v3
.LBB0_6:                                ;   in Loop: Header=BB0_2 Depth=1
	s_or_b32 exec_lo, exec_lo, s0
	v_mul_lo_u32 v4, v6, s24
	v_mul_lo_u32 v12, v5, s25
	s_load_dwordx2 s[0:1], s[6:7], 0x0
	v_mad_u64_u32 v[10:11], null, v5, s24, 0
	s_load_dwordx2 s[24:25], s[2:3], 0x0
	s_add_u32 s22, s22, 1
	s_addc_u32 s23, s23, 0
	s_add_u32 s2, s2, 8
	s_addc_u32 s3, s3, 0
	s_add_u32 s6, s6, 8
	v_add3_u32 v4, v11, v12, v4
	v_sub_co_u32 v7, vcc_lo, v7, v10
	s_addc_u32 s7, s7, 0
	s_add_u32 s20, s20, 8
	v_sub_co_ci_u32_e32 v4, vcc_lo, v8, v4, vcc_lo
	s_addc_u32 s21, s21, 0
	s_waitcnt lgkmcnt(0)
	v_mul_lo_u32 v8, s0, v4
	v_mul_lo_u32 v10, s1, v7
	v_mad_u64_u32 v[22:23], null, s0, v7, v[22:23]
	v_mul_lo_u32 v4, s24, v4
	v_mul_lo_u32 v11, s25, v7
	v_mad_u64_u32 v[1:2], null, s24, v7, v[1:2]
	v_cmp_ge_u64_e64 s0, s[22:23], s[14:15]
	v_add3_u32 v23, v10, v23, v8
	v_add3_u32 v2, v11, v2, v4
	s_and_b32 vcc_lo, exec_lo, s0
	s_cbranch_vccnz .LBB0_9
; %bb.7:                                ;   in Loop: Header=BB0_2 Depth=1
	v_mov_b32_e32 v8, v6
	v_mov_b32_e32 v7, v5
	s_branch .LBB0_2
.LBB0_8:
	v_mov_b32_e32 v1, v22
	v_mov_b32_e32 v5, v7
	;; [unrolled: 1-line block ×4, first 2 shown]
.LBB0_9:
	s_load_dwordx2 s[0:1], s[4:5], 0x28
	v_and_b32_e32 v3, 1, v9
	v_mul_hi_u32 v4, 0x2492493, v0
	s_lshl_b64 s[4:5], s[14:15], 3
                                        ; implicit-def: $vgpr7
                                        ; implicit-def: $vgpr21
                                        ; implicit-def: $vgpr19
                                        ; implicit-def: $vgpr17
                                        ; implicit-def: $vgpr15
                                        ; implicit-def: $vgpr13
                                        ; implicit-def: $vgpr11
                                        ; implicit-def: $vgpr9
	s_add_u32 s2, s18, s4
	s_addc_u32 s3, s19, s5
	s_waitcnt lgkmcnt(0)
	v_cmp_gt_u64_e32 vcc_lo, s[0:1], v[5:6]
	v_cmp_le_u64_e64 s1, s[0:1], v[5:6]
	v_cmp_eq_u32_e64 s0, 1, v3
                                        ; implicit-def: $vgpr3
	s_and_saveexec_b32 s6, s1
	s_xor_b32 s1, exec_lo, s6
; %bb.10:
	v_mul_u32_u24_e32 v3, 0x70, v4
                                        ; implicit-def: $vgpr4
                                        ; implicit-def: $vgpr22_vgpr23
	v_sub_nc_u32_e32 v3, v0, v3
                                        ; implicit-def: $vgpr0
	v_add_nc_u32_e32 v7, 0x70, v3
	v_add_nc_u32_e32 v21, 0xe0, v3
	;; [unrolled: 1-line block ×7, first 2 shown]
	v_or_b32_e32 v9, 0x380, v3
; %bb.11:
	s_or_saveexec_b32 s1, s1
	v_cndmask_b32_e64 v8, 0, 0x7e1, s0
	v_lshlrev_b32_e32 v12, 2, v8
	s_xor_b32 exec_lo, exec_lo, s1
	s_cbranch_execz .LBB0_13
; %bb.12:
	s_add_u32 s4, s16, s4
	s_addc_u32 s5, s17, s5
	v_mul_u32_u24_e32 v4, 0x70, v4
	s_load_dwordx2 s[4:5], s[4:5], 0x0
	v_lshlrev_b64 v[10:11], 2, v[22:23]
	s_waitcnt lgkmcnt(0)
	v_mul_lo_u32 v3, s5, v5
	v_mul_lo_u32 v9, s4, v6
	v_mad_u64_u32 v[7:8], null, s4, v5, 0
	v_add3_u32 v8, v8, v9, v3
	v_sub_nc_u32_e32 v3, v0, v4
	v_lshlrev_b64 v[7:8], 2, v[7:8]
	v_or_b32_e32 v9, 0x380, v3
	v_lshlrev_b32_e32 v0, 2, v3
	v_add_nc_u32_e32 v21, 0xe0, v3
	v_add_co_u32 v4, s0, s8, v7
	v_add_co_ci_u32_e64 v7, s0, s9, v8, s0
	v_lshlrev_b32_e32 v13, 2, v9
	v_add_co_u32 v4, s0, v4, v10
	v_add_co_ci_u32_e64 v14, s0, v7, v11, s0
	v_or_b32_e32 v15, 0x1c00, v0
	v_add_co_u32 v7, s0, v4, v0
	v_add_co_ci_u32_e64 v8, s0, 0, v14, s0
	v_add_co_u32 v10, s0, v4, v13
	v_add_co_ci_u32_e64 v11, s0, 0, v14, s0
	;; [unrolled: 2-line block ×6, first 2 shown]
	s_clause 0x11
	global_load_dword v4, v[7:8], off
	global_load_dword v22, v[7:8], off offset:448
	global_load_dword v23, v[7:8], off offset:896
	;; [unrolled: 1-line block ×13, first 2 shown]
	global_load_dword v10, v[10:11], off
	global_load_dword v16, v[15:16], off offset:1984
	global_load_dword v14, v[13:14], off
	global_load_dword v20, v[19:20], off offset:1472
	v_add3_u32 v0, 0, v12, v0
	v_add_nc_u32_e32 v7, 0x70, v3
	v_add_nc_u32_e32 v19, 0x150, v3
	;; [unrolled: 1-line block ×14, first 2 shown]
	s_waitcnt vmcnt(16)
	ds_write2_b32 v0, v4, v22 offset1:112
	s_waitcnt vmcnt(14)
	ds_write2_b32 v33, v23, v24 offset0:96 offset1:208
	s_waitcnt vmcnt(12)
	ds_write2_b32 v34, v8, v25 offset0:64 offset1:176
	s_waitcnt vmcnt(10)
	ds_write2_b32 v35, v26, v27 offset0:32 offset1:144
	s_waitcnt vmcnt(2)
	ds_write2_b32 v36, v10, v16 offset0:128 offset1:240
	ds_write2_b32 v37, v28, v29 offset0:96 offset1:208
	ds_write2_b32 v38, v30, v18 offset0:64 offset1:176
	;; [unrolled: 1-line block ×3, first 2 shown]
	s_waitcnt vmcnt(0)
	ds_write2_b32 v40, v14, v20 offset1:112
.LBB0_13:
	s_or_b32 exec_lo, exec_lo, s1
	v_lshlrev_b32_e32 v4, 2, v3
	v_add_nc_u32_e32 v0, 0, v12
	s_load_dwordx2 s[2:3], s[2:3], 0x0
	s_waitcnt lgkmcnt(0)
	s_barrier
	v_add3_u32 v8, 0, v4, v12
	v_add_nc_u32_e32 v10, v0, v4
	buffer_gl0_inv
	v_lshl_add_u32 v42, v7, 3, v0
	v_lshl_add_u32 v44, v21, 3, v0
	v_add_nc_u32_e32 v16, 0xc00, v8
	v_add_nc_u32_e32 v32, 0x400, v8
	;; [unrolled: 1-line block ×7, first 2 shown]
	ds_read2_b32 v[22:23], v16 offset0:16 offset1:128
	ds_read_b32 v41, v8 offset:7616
	ds_read2_b32 v[24:25], v14 offset0:16 offset1:128
	ds_read2_b32 v[26:27], v20 offset0:48 offset1:160
	;; [unrolled: 1-line block ×6, first 2 shown]
	ds_read_b32 v43, v10
	ds_read2_b32 v[39:40], v34 offset0:112 offset1:224
	v_add_nc_u32_e32 v51, v8, v4
	v_lshl_add_u32 v45, v19, 3, v0
	v_lshl_add_u32 v46, v17, 3, v0
	s_waitcnt lgkmcnt(0)
	s_barrier
	buffer_gl0_inv
	v_lshl_add_u32 v47, v15, 3, v0
	v_lshl_add_u32 v48, v13, 3, v0
	;; [unrolled: 1-line block ×4, first 2 shown]
	v_and_b32_e32 v52, 3, v3
	v_cmp_gt_u32_e64 s0, 0x60, v3
	v_lshlrev_b32_e32 v61, 2, v52
	v_pk_add_f16 v25, v22, v25 neg_lo:[0,1] neg_hi:[0,1]
	v_pk_add_f16 v37, v31, v37 neg_lo:[0,1] neg_hi:[0,1]
	v_pk_add_f16 v38, v35, v38 neg_lo:[0,1] neg_hi:[0,1]
	v_pk_add_f16 v39, v43, v39 neg_lo:[0,1] neg_hi:[0,1]
	v_pk_add_f16 v40, v30, v40 neg_lo:[0,1] neg_hi:[0,1]
	v_pk_add_f16 v28, v36, v28 neg_lo:[0,1] neg_hi:[0,1]
	v_pk_add_f16 v29, v26, v29 neg_lo:[0,1] neg_hi:[0,1]
	v_pk_add_f16 v24, v27, v24 neg_lo:[0,1] neg_hi:[0,1]
	v_pk_fma_f16 v43, v43, 2.0, v39 op_sel_hi:[1,0,1] neg_lo:[0,0,1] neg_hi:[0,0,1]
	v_pk_fma_f16 v30, v30, 2.0, v40 op_sel_hi:[1,0,1] neg_lo:[0,0,1] neg_hi:[0,0,1]
	;; [unrolled: 1-line block ×4, first 2 shown]
	v_pk_add_f16 v41, v23, v41 neg_lo:[0,1] neg_hi:[0,1]
	v_pk_fma_f16 v36, v36, 2.0, v28 op_sel_hi:[1,0,1] neg_lo:[0,0,1] neg_hi:[0,0,1]
	ds_write2_b32 v51, v43, v39 offset1:1
	ds_write2_b32 v42, v30, v40 offset1:1
	ds_write2_b32 v44, v31, v37 offset1:1
	ds_write2_b32 v45, v35, v38 offset1:1
	v_and_b32_e32 v31, 1, v3
	v_pk_fma_f16 v26, v26, 2.0, v29 op_sel_hi:[1,0,1] neg_lo:[0,0,1] neg_hi:[0,0,1]
	v_pk_fma_f16 v27, v27, 2.0, v24 op_sel_hi:[1,0,1] neg_lo:[0,0,1] neg_hi:[0,0,1]
	v_pk_fma_f16 v22, v22, 2.0, v25 op_sel_hi:[1,0,1] neg_lo:[0,0,1] neg_hi:[0,0,1]
	v_pk_fma_f16 v23, v23, 2.0, v41 op_sel_hi:[1,0,1] neg_lo:[0,0,1] neg_hi:[0,0,1]
	ds_write2_b32 v46, v36, v28 offset1:1
	ds_write2_b32 v47, v26, v29 offset1:1
	;; [unrolled: 1-line block ×4, first 2 shown]
	v_lshlrev_b32_e32 v22, 2, v31
	v_lshlrev_b32_e32 v35, 2, v21
	;; [unrolled: 1-line block ×3, first 2 shown]
	ds_write2_b32 v50, v23, v41 offset1:1
	s_waitcnt lgkmcnt(0)
	s_barrier
	buffer_gl0_inv
	global_load_dword v51, v22, s[12:13]
	v_lshlrev_b32_e32 v39, 2, v17
	v_lshlrev_b32_e32 v40, 2, v15
	;; [unrolled: 1-line block ×5, first 2 shown]
	v_sub_nc_u32_e32 v37, v44, v35
	v_sub_nc_u32_e32 v35, v45, v38
	;; [unrolled: 1-line block ×4, first 2 shown]
	v_lshl_add_u32 v36, v7, 2, v0
	v_sub_nc_u32_e32 v40, v48, v41
	v_sub_nc_u32_e32 v41, v49, v42
	;; [unrolled: 1-line block ×3, first 2 shown]
	ds_read2_b32 v[43:44], v34 offset0:112 offset1:224
	ds_read_b32 v62, v10
	ds_read_b32 v63, v35
	;; [unrolled: 1-line block ×5, first 2 shown]
	ds_read2_b32 v[45:46], v33 offset0:80 offset1:192
	ds_read2_b32 v[47:48], v18 offset0:48 offset1:160
	;; [unrolled: 1-line block ×3, first 2 shown]
	ds_read_b32 v67, v37
	ds_read_b32 v68, v36
	ds_read_b32 v69, v8 offset:7616
	ds_read_b32 v70, v41
	ds_read_b32 v71, v42
	v_lshlrev_b32_e32 v22, 1, v3
	v_lshlrev_b32_e32 v23, 1, v7
	;; [unrolled: 1-line block ×9, first 2 shown]
	v_and_or_b32 v53, 0xfc, v22, v31
	v_and_or_b32 v54, 0x1fc, v23, v31
	;; [unrolled: 1-line block ×9, first 2 shown]
	v_lshl_add_u32 v53, v53, 2, v0
	v_lshl_add_u32 v54, v54, 2, v0
	;; [unrolled: 1-line block ×9, first 2 shown]
	s_waitcnt vmcnt(0) lgkmcnt(0)
	s_barrier
	buffer_gl0_inv
	v_pk_mul_f16 v72, v51, v43 op_sel:[0,1]
	v_pk_mul_f16 v73, v51, v44 op_sel:[0,1]
	;; [unrolled: 1-line block ×9, first 2 shown]
	v_pk_fma_f16 v81, v51, v43, v72 op_sel:[0,0,1] op_sel_hi:[1,1,0]
	v_pk_fma_f16 v43, v51, v43, v72 op_sel:[0,0,1] op_sel_hi:[1,0,0] neg_lo:[1,0,0] neg_hi:[1,0,0]
	v_pk_fma_f16 v72, v51, v44, v73 op_sel:[0,0,1] op_sel_hi:[1,1,0]
	v_pk_fma_f16 v44, v51, v44, v73 op_sel:[0,0,1] op_sel_hi:[1,0,0] neg_lo:[1,0,0] neg_hi:[1,0,0]
	;; [unrolled: 2-line block ×9, first 2 shown]
	v_bfi_b32 v43, 0xffff, v81, v43
	v_bfi_b32 v44, 0xffff, v72, v44
	;; [unrolled: 1-line block ×9, first 2 shown]
	v_pk_add_f16 v43, v62, v43 neg_lo:[0,1] neg_hi:[0,1]
	v_pk_add_f16 v44, v68, v44 neg_lo:[0,1] neg_hi:[0,1]
	;; [unrolled: 1-line block ×9, first 2 shown]
	v_pk_fma_f16 v62, v62, 2.0, v43 op_sel_hi:[1,0,1] neg_lo:[0,0,1] neg_hi:[0,0,1]
	v_pk_fma_f16 v68, v68, 2.0, v44 op_sel_hi:[1,0,1] neg_lo:[0,0,1] neg_hi:[0,0,1]
	;; [unrolled: 1-line block ×9, first 2 shown]
	ds_write2_b32 v53, v62, v43 offset1:2
	ds_write2_b32 v54, v68, v44 offset1:2
	;; [unrolled: 1-line block ×9, first 2 shown]
	s_waitcnt lgkmcnt(0)
	s_barrier
	buffer_gl0_inv
	global_load_dword v31, v61, s[12:13] offset:8
	v_and_or_b32 v43, 0xf8, v22, v52
	v_and_or_b32 v44, 0x1f8, v23, v52
	;; [unrolled: 1-line block ×8, first 2 shown]
	v_lshl_add_u32 v54, v43, 2, v0
	v_lshl_add_u32 v55, v44, 2, v0
	ds_read2_b32 v[43:44], v34 offset0:112 offset1:224
	v_lshl_add_u32 v56, v45, 2, v0
	v_lshl_add_u32 v57, v46, 2, v0
	ds_read2_b32 v[45:46], v33 offset0:80 offset1:192
	v_lshl_add_u32 v58, v47, 2, v0
	v_lshl_add_u32 v59, v48, 2, v0
	;; [unrolled: 1-line block ×4, first 2 shown]
	ds_read2_b32 v[47:48], v18 offset0:48 offset1:160
	ds_read2_b32 v[49:50], v14 offset0:16 offset1:128
	ds_read_b32 v62, v10
	ds_read_b32 v63, v8 offset:7616
	ds_read_b32 v64, v35
	ds_read_b32 v65, v38
	;; [unrolled: 1-line block ×8, first 2 shown]
	v_and_b32_e32 v51, 7, v3
	v_and_or_b32 v52, 0x7f8, v30, v52
	s_waitcnt vmcnt(0) lgkmcnt(0)
	s_barrier
	buffer_gl0_inv
	v_lshlrev_b32_e32 v53, 2, v51
	v_lshl_add_u32 v52, v52, 2, v0
	v_pk_mul_f16 v72, v31, v43 op_sel:[0,1]
	v_pk_mul_f16 v73, v31, v44 op_sel:[0,1]
	;; [unrolled: 1-line block ×9, first 2 shown]
	v_pk_fma_f16 v81, v31, v43, v72 op_sel:[0,0,1] op_sel_hi:[1,1,0]
	v_pk_fma_f16 v43, v31, v43, v72 op_sel:[0,0,1] op_sel_hi:[1,0,0] neg_lo:[1,0,0] neg_hi:[1,0,0]
	v_pk_fma_f16 v72, v31, v44, v73 op_sel:[0,0,1] op_sel_hi:[1,1,0]
	v_pk_fma_f16 v44, v31, v44, v73 op_sel:[0,0,1] op_sel_hi:[1,0,0] neg_lo:[1,0,0] neg_hi:[1,0,0]
	;; [unrolled: 2-line block ×9, first 2 shown]
	v_bfi_b32 v43, 0xffff, v81, v43
	v_bfi_b32 v44, 0xffff, v72, v44
	;; [unrolled: 1-line block ×9, first 2 shown]
	v_pk_add_f16 v43, v62, v43 neg_lo:[0,1] neg_hi:[0,1]
	v_pk_add_f16 v44, v69, v44 neg_lo:[0,1] neg_hi:[0,1]
	;; [unrolled: 1-line block ×9, first 2 shown]
	v_pk_fma_f16 v62, v62, 2.0, v43 op_sel_hi:[1,0,1] neg_lo:[0,0,1] neg_hi:[0,0,1]
	v_pk_fma_f16 v63, v69, 2.0, v44 op_sel_hi:[1,0,1] neg_lo:[0,0,1] neg_hi:[0,0,1]
	;; [unrolled: 1-line block ×9, first 2 shown]
	ds_write2_b32 v54, v62, v43 offset1:4
	ds_write2_b32 v55, v63, v44 offset1:4
	;; [unrolled: 1-line block ×9, first 2 shown]
	s_waitcnt lgkmcnt(0)
	s_barrier
	buffer_gl0_inv
	global_load_dword v31, v53, s[12:13] offset:24
	v_and_or_b32 v43, 0xf0, v22, v51
	v_and_or_b32 v44, 0x1f0, v23, v51
	;; [unrolled: 1-line block ×8, first 2 shown]
	v_lshl_add_u32 v54, v43, 2, v0
	v_lshl_add_u32 v55, v44, 2, v0
	ds_read2_b32 v[43:44], v34 offset0:112 offset1:224
	v_lshl_add_u32 v56, v45, 2, v0
	v_lshl_add_u32 v57, v46, 2, v0
	ds_read2_b32 v[45:46], v33 offset0:80 offset1:192
	v_lshl_add_u32 v58, v47, 2, v0
	v_lshl_add_u32 v59, v48, 2, v0
	;; [unrolled: 1-line block ×4, first 2 shown]
	ds_read2_b32 v[47:48], v18 offset0:48 offset1:160
	ds_read2_b32 v[49:50], v14 offset0:16 offset1:128
	ds_read_b32 v62, v10
	ds_read_b32 v63, v8 offset:7616
	ds_read_b32 v64, v35
	ds_read_b32 v65, v38
	;; [unrolled: 1-line block ×8, first 2 shown]
	v_and_b32_e32 v52, 15, v3
	v_and_or_b32 v51, 0x7f0, v30, v51
	s_waitcnt vmcnt(0) lgkmcnt(0)
	s_barrier
	buffer_gl0_inv
	v_lshlrev_b32_e32 v53, 2, v52
	v_lshl_add_u32 v51, v51, 2, v0
	v_and_or_b32 v22, 0xe0, v22, v52
	v_and_or_b32 v23, 0x1e0, v23, v52
	v_and_or_b32 v24, 0x3e0, v24, v52
	v_and_or_b32 v25, 0x3e0, v25, v52
	v_and_or_b32 v26, 0x7e0, v26, v52
	v_and_or_b32 v27, 0x5e0, v27, v52
	v_and_or_b32 v28, 0x7e0, v28, v52
	v_and_or_b32 v29, 0x7e0, v29, v52
	v_and_or_b32 v30, 0x7e0, v30, v52
	v_lshl_add_u32 v52, v28, 2, v0
	v_lshl_add_u32 v30, v30, 2, v0
	v_pk_mul_f16 v72, v31, v43 op_sel:[0,1]
	v_pk_mul_f16 v73, v31, v44 op_sel:[0,1]
	;; [unrolled: 1-line block ×9, first 2 shown]
	v_pk_fma_f16 v81, v31, v43, v72 op_sel:[0,0,1] op_sel_hi:[1,1,0]
	v_pk_fma_f16 v43, v31, v43, v72 op_sel:[0,0,1] op_sel_hi:[1,0,0] neg_lo:[1,0,0] neg_hi:[1,0,0]
	v_pk_fma_f16 v72, v31, v44, v73 op_sel:[0,0,1] op_sel_hi:[1,1,0]
	v_pk_fma_f16 v44, v31, v44, v73 op_sel:[0,0,1] op_sel_hi:[1,0,0] neg_lo:[1,0,0] neg_hi:[1,0,0]
	;; [unrolled: 2-line block ×9, first 2 shown]
	v_bfi_b32 v43, 0xffff, v81, v43
	v_bfi_b32 v44, 0xffff, v72, v44
	;; [unrolled: 1-line block ×9, first 2 shown]
	v_pk_add_f16 v43, v62, v43 neg_lo:[0,1] neg_hi:[0,1]
	v_pk_add_f16 v44, v69, v44 neg_lo:[0,1] neg_hi:[0,1]
	v_pk_add_f16 v45, v68, v45 neg_lo:[0,1] neg_hi:[0,1]
	v_pk_add_f16 v46, v64, v46 neg_lo:[0,1] neg_hi:[0,1]
	v_pk_add_f16 v47, v65, v47 neg_lo:[0,1] neg_hi:[0,1]
	v_pk_add_f16 v48, v66, v48 neg_lo:[0,1] neg_hi:[0,1]
	v_pk_add_f16 v49, v67, v49 neg_lo:[0,1] neg_hi:[0,1]
	v_pk_add_f16 v50, v70, v50 neg_lo:[0,1] neg_hi:[0,1]
	v_pk_add_f16 v31, v71, v31 neg_lo:[0,1] neg_hi:[0,1]
	v_pk_fma_f16 v62, v62, 2.0, v43 op_sel_hi:[1,0,1] neg_lo:[0,0,1] neg_hi:[0,0,1]
	v_pk_fma_f16 v63, v69, 2.0, v44 op_sel_hi:[1,0,1] neg_lo:[0,0,1] neg_hi:[0,0,1]
	;; [unrolled: 1-line block ×9, first 2 shown]
	ds_write2_b32 v54, v62, v43 offset1:8
	ds_write2_b32 v55, v63, v44 offset1:8
	;; [unrolled: 1-line block ×9, first 2 shown]
	s_waitcnt lgkmcnt(0)
	s_barrier
	buffer_gl0_inv
	global_load_dword v31, v53, s[12:13] offset:56
	v_lshl_add_u32 v46, v22, 2, v0
	v_lshl_add_u32 v47, v23, 2, v0
	ds_read2_b32 v[22:23], v34 offset0:112 offset1:224
	v_lshl_add_u32 v48, v24, 2, v0
	v_lshl_add_u32 v49, v25, 2, v0
	;; [unrolled: 1-line block ×4, first 2 shown]
	ds_read2_b32 v[24:25], v33 offset0:80 offset1:192
	ds_read2_b32 v[26:27], v14 offset0:16 offset1:128
	v_lshl_add_u32 v53, v29, 2, v0
	ds_read2_b32 v[28:29], v18 offset0:48 offset1:160
	ds_read_b32 v54, v10
	ds_read_b32 v55, v8 offset:7616
	ds_read_b32 v56, v35
	ds_read_b32 v57, v38
	;; [unrolled: 1-line block ×8, first 2 shown]
	v_and_b32_e32 v43, 31, v7
	v_and_b32_e32 v44, 31, v19
	s_waitcnt vmcnt(0) lgkmcnt(0)
	s_barrier
	buffer_gl0_inv
	v_lshlrev_b32_e32 v45, 3, v43
	v_pk_mul_f16 v64, v31, v22 op_sel:[0,1]
	v_pk_mul_f16 v65, v31, v23 op_sel:[0,1]
	;; [unrolled: 1-line block ×9, first 2 shown]
	v_pk_fma_f16 v73, v31, v22, v64 op_sel:[0,0,1] op_sel_hi:[1,1,0]
	v_pk_fma_f16 v22, v31, v22, v64 op_sel:[0,0,1] op_sel_hi:[1,0,0] neg_lo:[1,0,0] neg_hi:[1,0,0]
	v_pk_fma_f16 v64, v31, v23, v65 op_sel:[0,0,1] op_sel_hi:[1,1,0]
	v_pk_fma_f16 v23, v31, v23, v65 op_sel:[0,0,1] op_sel_hi:[1,0,0] neg_lo:[1,0,0] neg_hi:[1,0,0]
	;; [unrolled: 2-line block ×9, first 2 shown]
	v_bfi_b32 v22, 0xffff, v73, v22
	v_bfi_b32 v23, 0xffff, v64, v23
	;; [unrolled: 1-line block ×9, first 2 shown]
	v_pk_add_f16 v22, v54, v22 neg_lo:[0,1] neg_hi:[0,1]
	v_pk_add_f16 v23, v61, v23 neg_lo:[0,1] neg_hi:[0,1]
	v_pk_add_f16 v24, v60, v24 neg_lo:[0,1] neg_hi:[0,1]
	v_pk_add_f16 v25, v56, v25 neg_lo:[0,1] neg_hi:[0,1]
	v_pk_add_f16 v28, v57, v28 neg_lo:[0,1] neg_hi:[0,1]
	v_pk_add_f16 v26, v59, v26 neg_lo:[0,1] neg_hi:[0,1]
	v_pk_add_f16 v31, v63, v31 neg_lo:[0,1] neg_hi:[0,1]
	v_pk_add_f16 v29, v58, v29 neg_lo:[0,1] neg_hi:[0,1]
	v_pk_add_f16 v27, v62, v27 neg_lo:[0,1] neg_hi:[0,1]
	v_pk_fma_f16 v54, v54, 2.0, v22 op_sel_hi:[1,0,1] neg_lo:[0,0,1] neg_hi:[0,0,1]
	v_pk_fma_f16 v55, v61, 2.0, v23 op_sel_hi:[1,0,1] neg_lo:[0,0,1] neg_hi:[0,0,1]
	;; [unrolled: 1-line block ×9, first 2 shown]
	ds_write2_b32 v46, v54, v22 offset1:16
	ds_write2_b32 v47, v55, v23 offset1:16
	ds_write2_b32 v48, v60, v24 offset1:16
	ds_write2_b32 v49, v56, v25 offset1:16
	ds_write2_b32 v50, v57, v28 offset1:16
	ds_write2_b32 v51, v58, v29 offset1:16
	ds_write2_b32 v52, v59, v26 offset1:16
	ds_write2_b32 v53, v62, v27 offset1:16
	ds_write2_b32 v30, v61, v31 offset1:16
	s_waitcnt lgkmcnt(0)
	s_barrier
	buffer_gl0_inv
	global_load_dwordx2 v[24:25], v45, s[12:13] offset:120
	v_lshlrev_b32_e32 v23, 3, v44
	v_and_b32_e32 v22, 31, v15
	v_and_b32_e32 v49, 31, v3
	v_lshrrev_b32_e32 v46, 5, v7
	v_lshrrev_b32_e32 v47, 5, v21
	global_load_dwordx2 v[30:31], v23, s[12:13] offset:120
	v_lshlrev_b32_e32 v23, 3, v22
	v_lshlrev_b32_e32 v28, 3, v49
	s_clause 0x1
	global_load_dwordx2 v[26:27], v23, s[12:13] offset:120
	global_load_dwordx2 v[28:29], v28, s[12:13] offset:120
	v_lshrrev_b32_e32 v45, 5, v3
	v_lshrrev_b32_e32 v48, 5, v19
	;; [unrolled: 1-line block ×3, first 2 shown]
	v_and_b32_e32 v52, 0xff, v7
	v_mov_b32_e32 v56, 0xaaab
	v_mul_lo_u32 v54, 0x60, v46
	v_lshrrev_b32_e32 v51, 5, v15
	v_add_nc_u32_e32 v53, 0xffffffa0, v3
	v_mul_u32_u24_e32 v45, 0x60, v45
	v_mul_lo_u32 v58, 0x60, v47
	v_mul_lo_u32 v59, 0x60, v48
	;; [unrolled: 1-line block ×3, first 2 shown]
	v_mul_lo_u16 v46, 0xab, v52
	v_mul_u32_u24_sdwa v47, v21, v56 dst_sel:DWORD dst_unused:UNUSED_PAD src0_sel:WORD_0 src1_sel:DWORD
	v_mul_u32_u24_sdwa v48, v19, v56 dst_sel:DWORD dst_unused:UNUSED_PAD src0_sel:WORD_0 src1_sel:DWORD
	v_mul_u32_u24_sdwa v50, v17, v56 dst_sel:DWORD dst_unused:UNUSED_PAD src0_sel:WORD_0 src1_sel:DWORD
	v_mul_lo_u32 v61, 0x60, v51
	v_cndmask_b32_e64 v62, v53, v3, s0
	v_or_b32_e32 v63, v45, v49
	v_lshrrev_b16 v45, 14, v46
	v_lshrrev_b32_e32 v46, 22, v47
	v_lshrrev_b32_e32 v47, 22, v48
	;; [unrolled: 1-line block ×3, first 2 shown]
	v_or_b32_e32 v64, v54, v43
	ds_read_b32 v65, v41
	ds_read2_b32 v[50:51], v18 offset0:48 offset1:160
	ds_read2_b32 v[52:53], v34 offset0:112 offset1:224
	;; [unrolled: 1-line block ×3, first 2 shown]
	v_or_b32_e32 v58, v58, v49
	v_or_b32_e32 v49, v60, v49
	ds_read_b32 v60, v40
	v_or_b32_e32 v59, v59, v44
	v_or_b32_e32 v22, v61, v22
	v_lshl_add_u32 v61, v63, 2, v0
	ds_read2_b32 v[43:44], v33 offset0:80 offset1:192
	ds_read_b32 v63, v42
	ds_read_u16 v66, v42 offset:2
	ds_read_b32 v67, v35
	ds_read_b32 v68, v39
	ds_read_b32 v69, v38
	ds_read_b32 v70, v37
	ds_read_b32 v71, v36
	ds_read_b32 v72, v8 offset:7616
	ds_read_b32 v73, v10
	v_lshl_add_u32 v64, v64, 2, v0
	v_lshl_add_u32 v58, v58, 2, v0
	;; [unrolled: 1-line block ×3, first 2 shown]
	v_mov_b32_e32 v23, 0
	v_lshl_add_u32 v59, v59, 2, v0
	v_lshl_add_u32 v49, v49, 2, v0
	s_waitcnt vmcnt(0) lgkmcnt(0)
	s_barrier
	buffer_gl0_inv
	v_lshrrev_b32_e32 v74, 16, v65
	v_lshrrev_b32_e32 v75, 16, v50
	;; [unrolled: 1-line block ×9, first 2 shown]
	v_mov_b32_e32 v57, 3
	v_mul_f16_sdwa v81, v24, v74 dst_sel:DWORD dst_unused:UNUSED_PAD src0_sel:WORD_1 src1_sel:DWORD
	v_mul_f16_sdwa v83, v24, v65 dst_sel:DWORD dst_unused:UNUSED_PAD src0_sel:WORD_1 src1_sel:DWORD
	v_mul_f16_sdwa v85, v25, v50 dst_sel:DWORD dst_unused:UNUSED_PAD src0_sel:WORD_1 src1_sel:DWORD
	v_fmac_f16_e32 v81, v24, v65
	v_mul_f16_sdwa v65, v25, v75 dst_sel:DWORD dst_unused:UNUSED_PAD src0_sel:WORD_1 src1_sel:DWORD
	v_fma_f16 v24, v24, v74, -v83
	v_mul_f16_sdwa v74, v52, v30 dst_sel:DWORD dst_unused:UNUSED_PAD src0_sel:DWORD src1_sel:WORD_1
	v_fma_f16 v75, v25, v75, -v85
	v_mul_f16_sdwa v83, v54, v31 dst_sel:DWORD dst_unused:UNUSED_PAD src0_sel:DWORD src1_sel:WORD_1
	v_fmac_f16_e32 v65, v25, v50
	v_mul_f16_sdwa v25, v76, v30 dst_sel:DWORD dst_unused:UNUSED_PAD src0_sel:DWORD src1_sel:WORD_1
	v_fma_f16 v74, v76, v30, -v74
	v_mul_f16_sdwa v50, v77, v31 dst_sel:DWORD dst_unused:UNUSED_PAD src0_sel:DWORD src1_sel:WORD_1
	v_fma_f16 v77, v77, v31, -v83
	v_mul_f16_sdwa v83, v78, v29 dst_sel:DWORD dst_unused:UNUSED_PAD src0_sel:DWORD src1_sel:WORD_1
	v_fmac_f16_e32 v25, v52, v30
	v_mul_f16_sdwa v30, v79, v28 dst_sel:DWORD dst_unused:UNUSED_PAD src0_sel:DWORD src1_sel:WORD_1
	v_mul_f16_sdwa v52, v53, v28 dst_sel:DWORD dst_unused:UNUSED_PAD src0_sel:DWORD src1_sel:WORD_1
	v_lshrrev_b32_e32 v76, 16, v43
	v_fmac_f16_e32 v50, v54, v31
	v_mul_f16_sdwa v31, v51, v29 dst_sel:DWORD dst_unused:UNUSED_PAD src0_sel:DWORD src1_sel:WORD_1
	v_fmac_f16_e32 v30, v53, v28
	v_mul_f16_sdwa v53, v28, v82 dst_sel:DWORD dst_unused:UNUSED_PAD src0_sel:WORD_1 src1_sel:DWORD
	v_fmac_f16_e32 v83, v51, v29
	v_mul_f16_sdwa v51, v80, v29 dst_sel:DWORD dst_unused:UNUSED_PAD src0_sel:DWORD src1_sel:WORD_1
	v_mul_f16_sdwa v54, v28, v60 dst_sel:DWORD dst_unused:UNUSED_PAD src0_sel:WORD_1 src1_sel:DWORD
	v_mul_f16_sdwa v85, v66, v28 dst_sel:DWORD dst_unused:UNUSED_PAD src0_sel:DWORD src1_sel:WORD_1
	v_fmac_f16_e32 v53, v28, v60
	v_mul_f16_sdwa v60, v28, v63 dst_sel:DWORD dst_unused:UNUSED_PAD src0_sel:WORD_1 src1_sel:DWORD
	v_fmac_f16_e32 v51, v55, v29
	v_mul_f16_sdwa v55, v55, v29 dst_sel:DWORD dst_unused:UNUSED_PAD src0_sel:DWORD src1_sel:WORD_1
	v_fma_f16 v54, v28, v82, -v54
	v_lshrrev_b32_e32 v82, 16, v72
	v_fmac_f16_e32 v85, v28, v63
	v_fma_f16 v60, v66, v28, -v60
	v_fma_f16 v31, v78, v29, -v31
	v_mul_f16_sdwa v78, v29, v44 dst_sel:DWORD dst_unused:UNUSED_PAD src0_sel:WORD_1 src1_sel:DWORD
	v_fma_f16 v28, v79, v28, -v52
	v_mul_f16_sdwa v52, v29, v84 dst_sel:DWORD dst_unused:UNUSED_PAD src0_sel:WORD_1 src1_sel:DWORD
	v_mul_f16_sdwa v79, v76, v26 dst_sel:DWORD dst_unused:UNUSED_PAD src0_sel:DWORD src1_sel:WORD_1
	v_lshrrev_b32_e32 v63, 16, v73
	v_fma_f16 v55, v80, v29, -v55
	v_fma_f16 v78, v29, v84, -v78
	v_fmac_f16_e32 v52, v29, v44
	v_mul_f16_sdwa v29, v43, v26 dst_sel:DWORD dst_unused:UNUSED_PAD src0_sel:DWORD src1_sel:WORD_1
	v_mul_f16_sdwa v44, v82, v27 dst_sel:DWORD dst_unused:UNUSED_PAD src0_sel:DWORD src1_sel:WORD_1
	v_fmac_f16_e32 v79, v43, v26
	v_mul_f16_sdwa v43, v72, v27 dst_sel:DWORD dst_unused:UNUSED_PAD src0_sel:DWORD src1_sel:WORD_1
	v_lshrrev_b32_e32 v66, 16, v71
	v_fma_f16 v26, v76, v26, -v29
	v_fmac_f16_e32 v44, v72, v27
	v_add_f16_e32 v76, v53, v52
	v_fma_f16 v27, v82, v27, -v43
	v_add_f16_e32 v43, v73, v53
	v_add_f16_e32 v82, v63, v54
	v_sub_f16_e32 v53, v53, v52
	v_fmac_f16_e32 v73, -0.5, v76
	v_add_f16_e32 v76, v81, v65
	v_add_f16_e32 v43, v43, v52
	;; [unrolled: 1-line block ×3, first 2 shown]
	v_sub_f16_e32 v54, v54, v78
	v_add_f16_e32 v78, v82, v78
	v_add_f16_e32 v82, v71, v81
	v_lshrrev_b32_e32 v80, 16, v70
	v_sub_f16_e32 v81, v81, v65
	v_fmac_f16_e32 v63, -0.5, v52
	v_add_f16_e32 v52, v66, v24
	v_add_f16_e32 v65, v82, v65
	;; [unrolled: 1-line block ×3, first 2 shown]
	v_fmac_f16_e32 v71, -0.5, v76
	v_add_f16_e32 v76, v70, v85
	v_lshrrev_b32_e32 v84, 16, v67
	v_sub_f16_e32 v24, v24, v75
	v_add_f16_e32 v52, v52, v75
	v_add_f16_e32 v75, v85, v83
	v_fmac_f16_e32 v66, -0.5, v82
	v_add_f16_e32 v82, v80, v60
	v_sub_f16_e32 v85, v85, v83
	v_add_f16_e32 v76, v76, v83
	v_add_f16_e32 v83, v60, v31
	v_sub_f16_e32 v60, v60, v31
	v_add_f16_e32 v31, v82, v31
	v_add_f16_e32 v82, v67, v25
	v_fmac_f16_e32 v70, -0.5, v75
	v_add_f16_e32 v75, v25, v50
	v_fmac_f16_e32 v80, -0.5, v83
	v_add_f16_e32 v83, v84, v74
	v_lshrrev_b32_e32 v29, 16, v69
	v_sub_f16_e32 v25, v25, v50
	v_add_f16_e32 v50, v82, v50
	v_add_f16_e32 v82, v74, v77
	v_sub_f16_e32 v74, v74, v77
	v_fmac_f16_e32 v67, -0.5, v75
	v_add_f16_e32 v75, v69, v30
	v_add_f16_e32 v77, v83, v77
	v_add_f16_e32 v83, v30, v51
	v_lshrrev_b32_e32 v72, 16, v68
	v_sub_f16_e32 v30, v30, v51
	v_fmac_f16_e32 v84, -0.5, v82
	v_add_f16_e32 v82, v29, v28
	v_add_f16_e32 v51, v75, v51
	v_add_f16_e32 v75, v28, v55
	v_fmac_f16_e32 v69, -0.5, v83
	v_add_f16_e32 v83, v68, v79
	v_sub_f16_e32 v28, v28, v55
	v_add_f16_e32 v55, v82, v55
	v_add_f16_e32 v82, v79, v44
	v_sub_f16_e32 v79, v79, v44
	v_fmac_f16_e32 v29, -0.5, v75
	v_add_f16_e32 v75, v72, v26
	v_add_f16_e32 v44, v83, v44
	;; [unrolled: 1-line block ×3, first 2 shown]
	v_fmac_f16_e32 v68, -0.5, v82
	v_sub_f16_e32 v26, v26, v27
	v_add_f16_e32 v27, v75, v27
	v_pack_b32_f16 v43, v43, v78
	v_fmac_f16_e32 v72, -0.5, v83
	v_fmamk_f16 v78, v54, 0xbaee, v73
	v_fmac_f16_e32 v73, 0x3aee, v54
	v_fmamk_f16 v54, v53, 0x3aee, v63
	v_fmac_f16_e32 v63, 0xbaee, v53
	v_pack_b32_f16 v52, v65, v52
	v_fmamk_f16 v65, v24, 0xbaee, v71
	v_fmac_f16_e32 v71, 0x3aee, v24
	v_fmamk_f16 v24, v81, 0x3aee, v66
	v_fmac_f16_e32 v66, 0xbaee, v81
	v_pack_b32_f16 v31, v76, v31
	v_fmamk_f16 v76, v60, 0xbaee, v70
	v_fmac_f16_e32 v70, 0x3aee, v60
	v_fmamk_f16 v60, v85, 0x3aee, v80
	v_fmac_f16_e32 v80, 0xbaee, v85
	;; [unrolled: 2-line block ×8, first 2 shown]
	v_pack_b32_f16 v27, v44, v27
	v_pack_b32_f16 v44, v78, v54
	;; [unrolled: 1-line block ×4, first 2 shown]
	v_mul_lo_u16 v82, 0x60, v45
	v_pack_b32_f16 v51, v51, v55
	v_pack_b32_f16 v55, v71, v66
	v_pack_b32_f16 v60, v76, v60
	v_pack_b32_f16 v25, v25, v28
	v_pack_b32_f16 v28, v69, v29
	v_mul_lo_u16 v53, 0x60, v48
	v_pack_b32_f16 v50, v50, v77
	v_pack_b32_f16 v63, v70, v80
	;; [unrolled: 1-line block ×6, first 2 shown]
	ds_write2_b32 v61, v43, v44 offset1:32
	ds_write_b32 v61, v54 offset:256
	ds_write2_b32 v64, v52, v24 offset1:32
	ds_write_b32 v64, v55 offset:256
	;; [unrolled: 2-line block ×6, first 2 shown]
	v_mul_u32_u24_sdwa v28, v15, v56 dst_sel:DWORD dst_unused:UNUSED_PAD src0_sel:WORD_0 src1_sel:DWORD
	v_lshlrev_b32_e32 v22, 1, v62
	v_mul_lo_u16 v75, 0x60, v46
	v_mul_lo_u16 v83, 0x60, v47
	v_sub_nc_u16 v82, v7, v82
	v_sub_nc_u16 v52, v17, v53
	v_lshrrev_b32_e32 v53, 22, v28
	v_lshlrev_b64 v[28:29], 2, v[22:23]
	v_sub_nc_u16 v75, v21, v75
	v_lshlrev_b32_sdwa v81, v57, v82 dst_sel:DWORD dst_unused:UNUSED_PAD src0_sel:DWORD src1_sel:BYTE_0
	v_sub_nc_u16 v51, v19, v83
	s_waitcnt lgkmcnt(0)
	s_barrier
	v_add_co_u32 v28, s0, s12, v28
	v_lshlrev_b32_sdwa v79, v57, v75 dst_sel:DWORD dst_unused:UNUSED_PAD src0_sel:DWORD src1_sel:WORD_0
	buffer_gl0_inv
	global_load_dwordx2 v[24:25], v81, s[12:13] offset:376
	v_lshlrev_b32_sdwa v30, v57, v51 dst_sel:DWORD dst_unused:UNUSED_PAD src0_sel:DWORD src1_sel:WORD_0
	v_lshlrev_b32_sdwa v22, v57, v52 dst_sel:DWORD dst_unused:UNUSED_PAD src0_sel:DWORD src1_sel:WORD_0
	v_mul_lo_u16 v49, 0x60, v53
	v_add_co_ci_u32_e64 v29, s0, s13, v29, s0
	s_clause 0x1
	global_load_dwordx2 v[26:27], v79, s[12:13] offset:376
	global_load_dwordx2 v[43:44], v22, s[12:13] offset:376
	v_sub_nc_u16 v22, v15, v49
	s_clause 0x1
	global_load_dwordx2 v[28:29], v[28:29], off offset:376
	global_load_dwordx2 v[30:31], v30, s[12:13] offset:376
	v_cmp_lt_u32_e64 s0, 0x5f, v3
	v_lshlrev_b32_e32 v55, 2, v62
	v_lshlrev_b32_sdwa v49, v57, v22 dst_sel:DWORD dst_unused:UNUSED_PAD src0_sel:DWORD src1_sel:WORD_0
	v_mov_b32_e32 v56, 2
	v_and_b32_e32 v45, 0xffff, v45
	v_cndmask_b32_e64 v54, 0, 0x480, s0
	v_mad_u32_u24 v58, 0x480, v47, 0
	global_load_dwordx2 v[49:50], v49, s[12:13] offset:376
	v_mad_u32_u24 v59, 0x480, v48, 0
	v_mad_u32_u24 v45, 0x480, v45, 0
	v_add_nc_u32_e32 v54, 0, v54
	v_lshlrev_b32_sdwa v60, v56, v75 dst_sel:DWORD dst_unused:UNUSED_PAD src0_sel:DWORD src1_sel:WORD_0
	v_lshlrev_b32_sdwa v51, v56, v51 dst_sel:DWORD dst_unused:UNUSED_PAD src0_sel:DWORD src1_sel:WORD_0
	;; [unrolled: 1-line block ×4, first 2 shown]
	v_add3_u32 v54, v54, v55, v12
	v_mad_u32_u24 v55, 0x480, v46, 0
	v_lshlrev_b32_sdwa v46, v56, v82 dst_sel:DWORD dst_unused:UNUSED_PAD src0_sel:DWORD src1_sel:BYTE_0
	v_mad_u32_u24 v53, 0x480, v53, 0
	v_add3_u32 v51, v58, v51, v12
	v_add3_u32 v52, v59, v52, v12
	;; [unrolled: 1-line block ×4, first 2 shown]
	ds_read2_b32 v[45:46], v18 offset0:48 offset1:160
	ds_read_b32 v61, v41
	ds_read_b32 v62, v42
	ds_read2_b32 v[41:42], v34 offset0:112 offset1:224
	ds_read2_b32 v[47:48], v14 offset0:16 offset1:128
	;; [unrolled: 1-line block ×3, first 2 shown]
	ds_read_b32 v63, v40
	ds_read_b32 v39, v39
	;; [unrolled: 1-line block ×6, first 2 shown]
	ds_read_b32 v66, v8 offset:7616
	ds_read_b32 v67, v10
	v_add3_u32 v22, v53, v22, v12
	v_add_nc_u32_e32 v57, 0x1000, v8
	s_waitcnt vmcnt(0) lgkmcnt(0)
	s_barrier
	buffer_gl0_inv
	v_cmp_gt_u32_e64 s0, 64, v3
	v_lshrrev_b32_e32 v58, 16, v45
	v_lshrrev_b32_e32 v53, 16, v61
	;; [unrolled: 1-line block ×18, first 2 shown]
	v_mul_f16_sdwa v80, v24, v53 dst_sel:DWORD dst_unused:UNUSED_PAD src0_sel:WORD_1 src1_sel:DWORD
	v_mul_f16_sdwa v81, v24, v61 dst_sel:DWORD dst_unused:UNUSED_PAD src0_sel:WORD_1 src1_sel:DWORD
	;; [unrolled: 1-line block ×4, first 2 shown]
	v_fmac_f16_e32 v80, v24, v61
	v_mul_f16_sdwa v84, v59, v26 dst_sel:DWORD dst_unused:UNUSED_PAD src0_sel:DWORD src1_sel:WORD_1
	v_mul_f16_sdwa v85, v62, v26 dst_sel:DWORD dst_unused:UNUSED_PAD src0_sel:DWORD src1_sel:WORD_1
	;; [unrolled: 1-line block ×3, first 2 shown]
	v_fma_f16 v24, v24, v53, -v81
	v_mul_f16_sdwa v53, v46, v27 dst_sel:DWORD dst_unused:UNUSED_PAD src0_sel:DWORD src1_sel:WORD_1
	v_mul_f16_sdwa v81, v41, v30 dst_sel:DWORD dst_unused:UNUSED_PAD src0_sel:DWORD src1_sel:WORD_1
	v_fmac_f16_e32 v83, v25, v45
	v_mul_f16_sdwa v45, v47, v31 dst_sel:DWORD dst_unused:UNUSED_PAD src0_sel:DWORD src1_sel:WORD_1
	v_fma_f16 v58, v25, v58, -v82
	v_fmac_f16_e32 v61, v46, v27
	v_mul_f16_sdwa v46, v69, v31 dst_sel:DWORD dst_unused:UNUSED_PAD src0_sel:DWORD src1_sel:WORD_1
	v_mul_f16_sdwa v82, v70, v43 dst_sel:DWORD dst_unused:UNUSED_PAD src0_sel:DWORD src1_sel:WORD_1
	v_fmac_f16_e32 v84, v62, v26
	v_fma_f16 v26, v59, v26, -v85
	v_fma_f16 v27, v60, v27, -v53
	v_mul_f16_sdwa v60, v28, v72 dst_sel:DWORD dst_unused:UNUSED_PAD src0_sel:WORD_1 src1_sel:DWORD
	v_mul_f16_sdwa v85, v28, v63 dst_sel:DWORD dst_unused:UNUSED_PAD src0_sel:WORD_1 src1_sel:DWORD
	v_mul_f16_sdwa v25, v68, v30 dst_sel:DWORD dst_unused:UNUSED_PAD src0_sel:DWORD src1_sel:WORD_1
	v_fma_f16 v68, v68, v30, -v81
	v_mul_f16_sdwa v81, v29, v34 dst_sel:DWORD dst_unused:UNUSED_PAD src0_sel:WORD_1 src1_sel:DWORD
	v_fma_f16 v45, v69, v31, -v45
	v_mul_f16_sdwa v69, v29, v73 dst_sel:DWORD dst_unused:UNUSED_PAD src0_sel:WORD_1 src1_sel:DWORD
	v_mul_f16_sdwa v62, v42, v43 dst_sel:DWORD dst_unused:UNUSED_PAD src0_sel:DWORD src1_sel:WORD_1
	v_mul_f16_sdwa v59, v71, v44 dst_sel:DWORD dst_unused:UNUSED_PAD src0_sel:DWORD src1_sel:WORD_1
	;; [unrolled: 1-line block ×3, first 2 shown]
	v_fmac_f16_e32 v46, v47, v31
	v_mul_f16_sdwa v31, v33, v49 dst_sel:DWORD dst_unused:UNUSED_PAD src0_sel:DWORD src1_sel:WORD_1
	v_fmac_f16_e32 v82, v42, v43
	v_mul_f16_sdwa v42, v66, v50 dst_sel:DWORD dst_unused:UNUSED_PAD src0_sel:DWORD src1_sel:WORD_1
	v_fmac_f16_e32 v60, v28, v63
	v_fma_f16 v28, v28, v72, -v85
	v_fmac_f16_e32 v25, v41, v30
	v_mul_f16_sdwa v30, v74, v49 dst_sel:DWORD dst_unused:UNUSED_PAD src0_sel:DWORD src1_sel:WORD_1
	v_mul_f16_sdwa v41, v75, v50 dst_sel:DWORD dst_unused:UNUSED_PAD src0_sel:DWORD src1_sel:WORD_1
	v_fma_f16 v47, v29, v73, -v81
	v_fmac_f16_e32 v69, v29, v34
	v_fmac_f16_e32 v59, v48, v44
	v_fma_f16 v43, v70, v43, -v62
	v_fma_f16 v44, v71, v44, -v53
	;; [unrolled: 1-line block ×4, first 2 shown]
	v_add_f16_e32 v42, v76, v28
	v_fmac_f16_e32 v30, v33, v49
	v_fmac_f16_e32 v41, v66, v50
	v_add_f16_e32 v33, v67, v60
	v_add_f16_e32 v34, v60, v69
	;; [unrolled: 1-line block ×6, first 2 shown]
	v_sub_f16_e32 v28, v28, v47
	v_add_f16_e32 v70, v84, v61
	v_add_f16_e32 v73, v26, v27
	;; [unrolled: 1-line block ×7, first 2 shown]
	v_sub_f16_e32 v48, v60, v69
	v_sub_f16_e32 v60, v80, v83
	v_add_f16_e32 v33, v33, v69
	v_fmac_f16_e32 v67, -0.5, v34
	v_add_f16_e32 v34, v39, v30
	v_fmac_f16_e32 v76, -0.5, v49
	v_add_f16_e32 v49, v30, v41
	v_add_f16_e32 v50, v50, v83
	;; [unrolled: 1-line block ×3, first 2 shown]
	v_fmac_f16_e32 v65, -0.5, v53
	v_add_f16_e32 v53, v29, v31
	v_add_f16_e32 v62, v77, v24
	v_sub_f16_e32 v24, v24, v58
	v_fmac_f16_e32 v77, -0.5, v63
	v_add_f16_e32 v66, v64, v84
	v_sub_f16_e32 v71, v84, v61
	v_add_f16_e32 v72, v78, v26
	v_sub_f16_e32 v26, v26, v27
	;; [unrolled: 2-line block ×6, first 2 shown]
	v_fmac_f16_e32 v64, -0.5, v70
	v_fmac_f16_e32 v78, -0.5, v73
	;; [unrolled: 1-line block ×6, first 2 shown]
	v_sub_f16_e32 v30, v30, v41
	v_sub_f16_e32 v29, v29, v31
	v_add_f16_e32 v41, v34, v41
	v_fmac_f16_e32 v39, -0.5, v49
	v_add_f16_e32 v42, v83, v31
	v_fmac_f16_e32 v40, -0.5, v53
	v_pack_b32_f16 v31, v33, v47
	v_fmamk_f16 v33, v28, 0xbaee, v67
	v_fmamk_f16 v34, v48, 0x3aee, v76
	v_fmac_f16_e32 v67, 0x3aee, v28
	v_fmac_f16_e32 v76, 0xbaee, v48
	v_add_f16_e32 v58, v62, v58
	v_fmamk_f16 v28, v24, 0xbaee, v65
	v_fmac_f16_e32 v65, 0x3aee, v24
	v_fmamk_f16 v24, v60, 0x3aee, v77
	v_fmac_f16_e32 v77, 0xbaee, v60
	v_add_f16_e32 v61, v66, v61
	v_add_f16_e32 v27, v72, v27
	;; [unrolled: 1-line block ×4, first 2 shown]
	v_fmamk_f16 v47, v26, 0xbaee, v64
	v_fmac_f16_e32 v64, 0x3aee, v26
	v_fmamk_f16 v26, v71, 0x3aee, v78
	v_fmac_f16_e32 v78, 0xbaee, v71
	;; [unrolled: 2-line block ×4, first 2 shown]
	v_fmamk_f16 v25, v43, 0xbaee, v38
	v_fmamk_f16 v53, v82, 0x3aee, v12
	v_add_f16_e32 v59, v84, v59
	v_add_f16_e32 v62, v69, v44
	v_fmac_f16_e32 v38, 0x3aee, v43
	v_fmac_f16_e32 v12, 0xbaee, v82
	v_fmamk_f16 v43, v29, 0xbaee, v39
	v_fmac_f16_e32 v39, 0x3aee, v29
	v_fmamk_f16 v44, v30, 0x3aee, v40
	v_fmac_f16_e32 v40, 0xbaee, v30
	v_pack_b32_f16 v33, v33, v34
	v_pack_b32_f16 v34, v67, v76
	;; [unrolled: 1-line block ×17, first 2 shown]
	ds_write2_b32 v54, v31, v33 offset1:96
	ds_write_b32 v54, v34 offset:768
	ds_write2_b32 v56, v29, v24 offset1:96
	ds_write_b32 v56, v28 offset:768
	;; [unrolled: 2-line block ×6, first 2 shown]
	s_waitcnt lgkmcnt(0)
	s_barrier
	buffer_gl0_inv
	ds_read2_b32 v[34:35], v32 offset0:32 offset1:144
	ds_read2_b32 v[30:31], v20 offset0:64 offset1:176
	;; [unrolled: 1-line block ×6, first 2 shown]
	ds_read_b32 v48, v10
	ds_read_b32 v47, v36
                                        ; implicit-def: $vgpr16
                                        ; implicit-def: $vgpr14
                                        ; implicit-def: $vgpr46
                                        ; implicit-def: $vgpr45
                                        ; implicit-def: $vgpr20
                                        ; implicit-def: $vgpr18
	s_and_saveexec_b32 s1, s0
	s_cbranch_execz .LBB0_15
; %bb.14:
	ds_read_b32 v38, v37
	ds_read_b32 v41, v8 offset:2048
	ds_read_b32 v43, v8 offset:3200
	;; [unrolled: 1-line block ×6, first 2 shown]
	s_waitcnt lgkmcnt(6)
	v_lshrrev_b32_e32 v12, 16, v38
	s_waitcnt lgkmcnt(5)
	v_lshrrev_b32_e32 v42, 16, v41
	;; [unrolled: 2-line block ×7, first 2 shown]
.LBB0_15:
	s_or_b32 exec_lo, exec_lo, s1
	v_mul_u32_u24_e32 v22, 6, v3
	s_waitcnt lgkmcnt(2)
	v_lshrrev_b32_e32 v64, 16, v32
	v_lshrrev_b32_e32 v65, 16, v28
	;; [unrolled: 1-line block ×4, first 2 shown]
	v_lshlrev_b32_e32 v37, 2, v22
	v_mul_i32_i24_e32 v22, 6, v7
	v_lshrrev_b32_e32 v68, 16, v34
	v_lshrrev_b32_e32 v69, 16, v30
	;; [unrolled: 1-line block ×3, first 2 shown]
	s_clause 0x1
	global_load_dwordx4 v[49:52], v37, s[12:13] offset:1144
	global_load_dwordx2 v[57:58], v37, s[12:13] offset:1160
	v_lshlrev_b64 v[22:23], 2, v[22:23]
	v_lshrrev_b32_e32 v61, 16, v33
	v_lshrrev_b32_e32 v62, 16, v31
	;; [unrolled: 1-line block ×5, first 2 shown]
	v_add_co_u32 v22, s1, s12, v22
	v_add_co_ci_u32_e64 v23, s1, s13, v23, s1
	s_clause 0x1
	global_load_dwordx4 v[53:56], v[22:23], off offset:1144
	global_load_dwordx2 v[22:23], v[22:23], off offset:1160
	s_waitcnt vmcnt(0) lgkmcnt(0)
	s_barrier
	buffer_gl0_inv
	v_mul_f16_sdwa v70, v49, v68 dst_sel:DWORD dst_unused:UNUSED_PAD src0_sel:WORD_1 src1_sel:DWORD
	v_mul_f16_sdwa v71, v49, v34 dst_sel:DWORD dst_unused:UNUSED_PAD src0_sel:WORD_1 src1_sel:DWORD
	;; [unrolled: 1-line block ×12, first 2 shown]
	v_fmac_f16_e32 v70, v49, v34
	v_fma_f16 v34, v49, v68, -v71
	v_fmac_f16_e32 v72, v50, v30
	v_fma_f16 v30, v50, v69, -v73
	;; [unrolled: 2-line block ×6, first 2 shown]
	v_mul_f16_sdwa v49, v53, v63 dst_sel:DWORD dst_unused:UNUSED_PAD src0_sel:WORD_1 src1_sel:DWORD
	v_mul_f16_sdwa v50, v53, v35 dst_sel:DWORD dst_unused:UNUSED_PAD src0_sel:WORD_1 src1_sel:DWORD
	;; [unrolled: 1-line block ×4, first 2 shown]
	v_mul_f16_sdwa v66, v60, v22 dst_sel:DWORD dst_unused:UNUSED_PAD src0_sel:DWORD src1_sel:WORD_1
	v_mul_f16_sdwa v67, v29, v22 dst_sel:DWORD dst_unused:UNUSED_PAD src0_sel:DWORD src1_sel:WORD_1
	v_mul_f16_sdwa v68, v61, v23 dst_sel:DWORD dst_unused:UNUSED_PAD src0_sel:DWORD src1_sel:WORD_1
	v_mul_f16_sdwa v69, v33, v23 dst_sel:DWORD dst_unused:UNUSED_PAD src0_sel:DWORD src1_sel:WORD_1
	v_mul_f16_sdwa v57, v37, v55 dst_sel:DWORD dst_unused:UNUSED_PAD src0_sel:DWORD src1_sel:WORD_1
	v_mul_f16_sdwa v58, v27, v55 dst_sel:DWORD dst_unused:UNUSED_PAD src0_sel:DWORD src1_sel:WORD_1
	v_mul_f16_sdwa v64, v59, v56 dst_sel:DWORD dst_unused:UNUSED_PAD src0_sel:DWORD src1_sel:WORD_1
	v_mul_f16_sdwa v65, v25, v56 dst_sel:DWORD dst_unused:UNUSED_PAD src0_sel:DWORD src1_sel:WORD_1
	v_add_f16_e32 v71, v70, v80
	v_add_f16_e32 v73, v34, v32
	v_sub_f16_e32 v70, v70, v80
	v_sub_f16_e32 v32, v34, v32
	v_add_f16_e32 v34, v72, v78
	v_add_f16_e32 v75, v30, v28
	v_sub_f16_e32 v72, v72, v78
	v_sub_f16_e32 v28, v30, v28
	;; [unrolled: 4-line block ×3, first 2 shown]
	v_fmac_f16_e32 v49, v53, v35
	v_fma_f16 v26, v53, v63, -v50
	v_fmac_f16_e32 v51, v54, v31
	v_fma_f16 v31, v54, v62, -v52
	;; [unrolled: 2-line block ×6, first 2 shown]
	v_add_f16_e32 v29, v34, v71
	v_add_f16_e32 v33, v75, v73
	v_sub_f16_e32 v35, v34, v71
	v_sub_f16_e32 v50, v71, v30
	;; [unrolled: 1-line block ×5, first 2 shown]
	v_add_f16_e32 v54, v74, v72
	v_add_f16_e32 v55, v24, v28
	v_sub_f16_e32 v56, v74, v72
	v_sub_f16_e32 v58, v24, v28
	;; [unrolled: 1-line block ×4, first 2 shown]
	v_add_f16_e32 v61, v49, v68
	v_add_f16_e32 v62, v26, v23
	v_sub_f16_e32 v23, v26, v23
	v_add_f16_e32 v26, v51, v66
	v_add_f16_e32 v63, v31, v22
	v_sub_f16_e32 v37, v75, v73
	v_sub_f16_e32 v59, v70, v74
	;; [unrolled: 1-line block ×5, first 2 shown]
	v_add_f16_e32 v31, v57, v64
	v_add_f16_e32 v65, v27, v25
	v_sub_f16_e32 v57, v64, v57
	v_sub_f16_e32 v25, v25, v27
	v_add_f16_e32 v27, v30, v29
	v_add_f16_e32 v29, v77, v33
	;; [unrolled: 1-line block ×4, first 2 shown]
	v_mul_f16_e32 v33, 0x3a52, v50
	v_mul_f16_e32 v50, 0x3a52, v52
	;; [unrolled: 1-line block ×8, first 2 shown]
	v_add_f16_e32 v66, v26, v61
	v_add_f16_e32 v67, v63, v62
	v_sub_f16_e32 v49, v49, v68
	v_sub_f16_e32 v68, v26, v61
	;; [unrolled: 1-line block ×6, first 2 shown]
	v_add_f16_e32 v71, v25, v22
	v_sub_f16_e32 v72, v57, v51
	v_sub_f16_e32 v73, v25, v22
	;; [unrolled: 1-line block ×3, first 2 shown]
	v_add_f16_e32 v74, v48, v27
	v_add_f16_sdwa v48, v48, v29 dst_sel:DWORD dst_unused:UNUSED_PAD src0_sel:WORD_1 src1_sel:DWORD
	v_fmamk_f16 v34, v34, 0x2b26, v33
	v_fmamk_f16 v53, v53, 0x2b26, v50
	v_fma_f16 v52, v35, 0x39e0, -v52
	v_fma_f16 v54, v37, 0x39e0, -v54
	v_fma_f16 v33, v35, 0xb9e0, -v33
	v_fma_f16 v35, v37, 0xb9e0, -v50
	v_fmamk_f16 v37, v59, 0xb574, v55
	v_fmamk_f16 v50, v24, 0xb574, v56
	v_fma_f16 v55, v60, 0xbb00, -v55
	v_fma_f16 v28, v28, 0xbb00, -v56
	;; [unrolled: 1-line block ×4, first 2 shown]
	v_add_f16_e32 v31, v31, v66
	v_add_f16_e32 v58, v65, v67
	v_sub_f16_e32 v63, v65, v63
	v_add_f16_e32 v70, v57, v51
	v_sub_f16_e32 v51, v51, v49
	v_sub_f16_e32 v57, v49, v57
	;; [unrolled: 1-line block ×3, first 2 shown]
	v_mul_f16_e32 v59, 0x3a52, v61
	v_mul_f16_e32 v60, 0x3a52, v62
	;; [unrolled: 1-line block ×6, first 2 shown]
	v_fmamk_f16 v27, v27, 0xbcab, v74
	v_fmamk_f16 v29, v29, 0xbcab, v48
	v_fmac_f16_e32 v37, 0xb70e, v30
	v_fmac_f16_e32 v50, 0xb70e, v32
	v_fmac_f16_e32 v55, 0xb70e, v30
	v_fmac_f16_e32 v28, 0xb70e, v32
	v_fmac_f16_e32 v56, 0xb70e, v30
	v_fmac_f16_e32 v24, 0xb70e, v32
	v_pack_b32_f16 v30, v74, v48
	v_add_f16_e32 v32, v47, v31
	v_add_f16_sdwa v47, v47, v58 dst_sel:DWORD dst_unused:UNUSED_PAD src0_sel:WORD_1 src1_sel:DWORD
	v_mul_f16_e32 v62, 0x2b26, v63
	v_mul_f16_e32 v66, 0xbb00, v51
	v_add_f16_e32 v49, v70, v49
	v_add_f16_e32 v23, v71, v23
	v_fmamk_f16 v26, v26, 0x2b26, v59
	v_fmamk_f16 v48, v63, 0x2b26, v60
	v_fma_f16 v61, v68, 0x39e0, -v61
	v_fma_f16 v59, v68, 0xb9e0, -v59
	v_fmamk_f16 v63, v57, 0xb574, v64
	v_fmamk_f16 v68, v25, 0xb574, v65
	v_fma_f16 v22, v22, 0xbb00, -v65
	v_fma_f16 v25, v25, 0x3574, -v67
	v_add_f16_e32 v34, v34, v27
	v_add_f16_e32 v53, v53, v29
	;; [unrolled: 1-line block ×6, first 2 shown]
	ds_write_b32 v8, v30
	v_fmamk_f16 v30, v31, 0xbcab, v32
	v_fmamk_f16 v31, v58, 0xbcab, v47
	v_fma_f16 v62, v69, 0x39e0, -v62
	v_fma_f16 v60, v69, 0xb9e0, -v60
	;; [unrolled: 1-line block ×4, first 2 shown]
	v_fmac_f16_e32 v63, 0xb70e, v49
	v_fmac_f16_e32 v68, 0xb70e, v23
	v_fmac_f16_e32 v22, 0xb70e, v23
	v_fmac_f16_e32 v25, 0xb70e, v23
	v_pack_b32_f16 v23, v32, v47
	v_add_f16_e32 v32, v50, v34
	v_sub_f16_e32 v33, v53, v37
	v_add_f16_e32 v35, v24, v27
	v_sub_f16_e32 v47, v29, v56
	v_sub_f16_e32 v24, v27, v24
	v_add_f16_e32 v27, v56, v29
	v_sub_f16_e32 v29, v34, v50
	v_add_f16_e32 v34, v37, v53
	v_add_f16_e32 v26, v26, v30
	;; [unrolled: 1-line block ×3, first 2 shown]
	v_fmac_f16_e32 v51, 0xb70e, v49
	v_fmac_f16_e32 v57, 0xb70e, v49
	v_sub_f16_e32 v49, v52, v28
	v_add_f16_e32 v58, v55, v54
	v_add_f16_e32 v48, v61, v30
	;; [unrolled: 1-line block ×6, first 2 shown]
	v_sub_f16_e32 v52, v54, v55
	v_pack_b32_f16 v32, v32, v33
	v_pack_b32_f16 v24, v24, v27
	;; [unrolled: 1-line block ×3, first 2 shown]
	v_add_f16_e32 v29, v68, v26
	v_sub_f16_e32 v34, v37, v63
	v_pack_b32_f16 v33, v35, v47
	v_pack_b32_f16 v35, v49, v58
	v_add_f16_e32 v47, v25, v30
	v_sub_f16_e32 v49, v31, v57
	v_pack_b32_f16 v28, v28, v52
	v_sub_f16_e32 v52, v48, v22
	v_add_f16_e32 v53, v51, v50
	v_add_f16_e32 v22, v22, v48
	v_sub_f16_e32 v48, v50, v51
	v_sub_f16_e32 v25, v30, v25
	v_add_f16_e32 v30, v57, v31
	v_sub_f16_e32 v26, v26, v68
	v_add_f16_e32 v31, v63, v37
	ds_write_b32 v8, v32 offset:1152
	ds_write_b32 v8, v33 offset:2304
	;; [unrolled: 1-line block ×6, first 2 shown]
	ds_write_b32 v36, v23
	v_pack_b32_f16 v23, v29, v34
	v_pack_b32_f16 v24, v47, v49
	;; [unrolled: 1-line block ×6, first 2 shown]
	ds_write_b32 v36, v23 offset:1152
	ds_write_b32 v36, v24 offset:2304
	;; [unrolled: 1-line block ×6, first 2 shown]
	s_and_saveexec_b32 s1, s0
	s_cbranch_execz .LBB0_17
; %bb.16:
	v_subrev_nc_u32_e32 v22, 64, v3
	v_mov_b32_e32 v23, 0
	v_cndmask_b32_e64 v22, v22, v21, s0
	v_mul_i32_i24_e32 v22, 6, v22
	v_lshlrev_b64 v[22:23], 2, v[22:23]
	v_add_co_u32 v26, s0, s12, v22
	v_add_co_ci_u32_e64 v27, s0, s13, v23, s0
	s_clause 0x1
	global_load_dwordx4 v[22:25], v[26:27], off offset:1144
	global_load_dwordx2 v[26:27], v[26:27], off offset:1160
	s_waitcnt vmcnt(1)
	v_mul_f16_sdwa v28, v42, v22 dst_sel:DWORD dst_unused:UNUSED_PAD src0_sel:DWORD src1_sel:WORD_1
	s_waitcnt vmcnt(0)
	v_mul_f16_sdwa v29, v46, v27 dst_sel:DWORD dst_unused:UNUSED_PAD src0_sel:DWORD src1_sel:WORD_1
	v_mul_f16_sdwa v30, v16, v25 dst_sel:DWORD dst_unused:UNUSED_PAD src0_sel:DWORD src1_sel:WORD_1
	v_mul_f16_sdwa v31, v40, v24 dst_sel:DWORD dst_unused:UNUSED_PAD src0_sel:DWORD src1_sel:WORD_1
	v_mul_f16_sdwa v32, v44, v23 dst_sel:DWORD dst_unused:UNUSED_PAD src0_sel:DWORD src1_sel:WORD_1
	v_mul_f16_sdwa v33, v20, v26 dst_sel:DWORD dst_unused:UNUSED_PAD src0_sel:DWORD src1_sel:WORD_1
	v_mul_f16_sdwa v34, v45, v27 dst_sel:DWORD dst_unused:UNUSED_PAD src0_sel:DWORD src1_sel:WORD_1
	v_mul_f16_sdwa v35, v41, v22 dst_sel:DWORD dst_unused:UNUSED_PAD src0_sel:DWORD src1_sel:WORD_1
	v_mul_f16_sdwa v48, v18, v26 dst_sel:DWORD dst_unused:UNUSED_PAD src0_sel:DWORD src1_sel:WORD_1
	v_mul_f16_sdwa v49, v43, v23 dst_sel:DWORD dst_unused:UNUSED_PAD src0_sel:DWORD src1_sel:WORD_1
	v_mul_f16_sdwa v37, v39, v24 dst_sel:DWORD dst_unused:UNUSED_PAD src0_sel:DWORD src1_sel:WORD_1
	v_mul_f16_sdwa v47, v14, v25 dst_sel:DWORD dst_unused:UNUSED_PAD src0_sel:DWORD src1_sel:WORD_1
	v_fmac_f16_e32 v28, v41, v22
	v_fmac_f16_e32 v29, v45, v27
	;; [unrolled: 1-line block ×6, first 2 shown]
	v_fma_f16 v14, v46, v27, -v34
	v_fma_f16 v18, v42, v22, -v35
	v_fma_f16 v20, v20, v26, -v48
	v_fma_f16 v23, v44, v23, -v49
	v_fma_f16 v22, v40, v24, -v37
	v_fma_f16 v16, v16, v25, -v47
	v_sub_f16_e32 v24, v28, v29
	v_sub_f16_e32 v25, v30, v31
	v_add_f16_e32 v27, v18, v14
	v_add_f16_e32 v35, v23, v20
	v_add_f16_e32 v28, v28, v29
	v_add_f16_e32 v29, v31, v30
	v_add_f16_e32 v30, v32, v33
	v_sub_f16_e32 v26, v32, v33
	v_add_f16_e32 v34, v22, v16
	v_sub_f16_e32 v14, v18, v14
	v_sub_f16_e32 v16, v16, v22
	;; [unrolled: 1-line block ×3, first 2 shown]
	v_add_f16_e32 v32, v35, v27
	v_add_f16_e32 v39, v30, v28
	v_sub_f16_e32 v20, v24, v25
	v_sub_f16_e32 v22, v25, v26
	v_add_f16_e32 v23, v25, v26
	v_sub_f16_e32 v25, v27, v34
	v_sub_f16_e32 v31, v34, v35
	;; [unrolled: 1-line block ×6, first 2 shown]
	v_add_f16_e32 v16, v16, v18
	v_sub_f16_e32 v26, v26, v24
	v_sub_f16_e32 v28, v30, v28
	;; [unrolled: 1-line block ×3, first 2 shown]
	v_add_f16_e32 v30, v34, v32
	v_add_f16_e32 v29, v29, v39
	v_sub_f16_e32 v27, v35, v27
	v_mul_f16_e32 v22, 0x3846, v22
	v_add_f16_e32 v23, v23, v24
	v_mul_f16_e32 v24, 0x3a52, v25
	v_mul_f16_e32 v25, 0x2b26, v31
	;; [unrolled: 1-line block ×5, first 2 shown]
	v_add_f16_e32 v14, v16, v14
	v_mul_f16_e32 v16, 0xbb00, v26
	v_mul_f16_e32 v35, 0xbb00, v18
	v_add_f16_e32 v12, v12, v30
	v_add_f16_e32 v38, v38, v29
	v_fmamk_f16 v39, v20, 0xb574, v22
	v_fmamk_f16 v31, v31, 0x2b26, v24
	;; [unrolled: 1-line block ×4, first 2 shown]
	v_fma_f16 v16, v20, 0x3574, -v16
	v_fma_f16 v20, v27, 0xb9e0, -v24
	;; [unrolled: 1-line block ×8, first 2 shown]
	v_fmamk_f16 v27, v30, 0xbcab, v12
	v_fmamk_f16 v28, v29, 0xbcab, v38
	v_fmac_f16_e32 v39, 0xb70e, v23
	v_fmac_f16_e32 v41, 0xb70e, v14
	;; [unrolled: 1-line block ×6, first 2 shown]
	v_pack_b32_f16 v12, v38, v12
	v_add_f16_e32 v14, v31, v27
	v_add_f16_e32 v23, v37, v28
	;; [unrolled: 1-line block ×6, first 2 shown]
	ds_write_b32 v8, v12 offset:896
	v_add_f16_e32 v12, v39, v14
	v_add_f16_e32 v28, v16, v20
	v_sub_f16_e32 v16, v20, v16
	v_sub_f16_e32 v14, v14, v39
	v_add_f16_e32 v20, v41, v23
	v_sub_f16_e32 v27, v23, v41
	v_add_f16_e32 v23, v32, v24
	;; [unrolled: 2-line block ×4, first 2 shown]
	v_sub_f16_e32 v24, v24, v32
	v_pack_b32_f16 v14, v20, v14
	v_pack_b32_f16 v16, v23, v16
	;; [unrolled: 1-line block ×6, first 2 shown]
	ds_write_b32 v8, v14 offset:2048
	ds_write_b32 v8, v16 offset:3200
	;; [unrolled: 1-line block ×6, first 2 shown]
.LBB0_17:
	s_or_b32 exec_lo, exec_lo, s1
	s_waitcnt lgkmcnt(0)
	s_barrier
	buffer_gl0_inv
	ds_read_b32 v8, v10
	v_sub_nc_u32_e32 v23, v0, v4
	s_add_u32 s1, s12, 0x1f78
	s_addc_u32 s4, s13, 0
	s_mov_b32 s5, exec_lo
                                        ; implicit-def: $vgpr12
                                        ; implicit-def: $vgpr4
                                        ; implicit-def: $vgpr24
	v_cmpx_ne_u32_e32 0, v3
	s_xor_b32 s5, exec_lo, s5
	s_cbranch_execz .LBB0_19
; %bb.18:
	v_mov_b32_e32 v4, 0
	ds_read_b32 v12, v23 offset:8064
	v_lshlrev_b64 v[24:25], 2, v[3:4]
	v_add_co_u32 v24, s0, s1, v24
	v_add_co_ci_u32_e64 v25, s0, s4, v25, s0
	global_load_dword v4, v[24:25], off
	s_waitcnt lgkmcnt(0)
	v_pk_add_f16 v14, v8, v12 neg_lo:[0,1] neg_hi:[0,1]
	v_pk_add_f16 v8, v12, v8
	v_bfi_b32 v12, 0xffff, v14, v8
	v_bfi_b32 v8, 0xffff, v8, v14
	v_pk_mul_f16 v12, v12, 0.5 op_sel_hi:[1,0]
	v_pk_mul_f16 v16, v8, 0.5 op_sel_hi:[1,0]
	s_waitcnt vmcnt(0)
	v_pk_mul_f16 v14, v4, v12 op_sel:[1,0]
	v_pk_mul_f16 v18, v4, v12 op_sel_hi:[0,1]
	v_pk_fma_f16 v4, v8, 0.5, v14 op_sel_hi:[1,0,1]
	v_sub_f16_e32 v8, v16, v14
	v_sub_f16_sdwa v14, v14, v16 dst_sel:DWORD dst_unused:UNUSED_PAD src0_sel:WORD_1 src1_sel:WORD_1
	v_pk_add_f16 v12, v4, v18 op_sel:[0,1] op_sel_hi:[1,0]
	v_pk_add_f16 v20, v4, v18 op_sel:[0,1] op_sel_hi:[1,0] neg_lo:[0,1] neg_hi:[0,1]
	v_sub_f16_sdwa v4, v8, v18 dst_sel:DWORD dst_unused:UNUSED_PAD src0_sel:DWORD src1_sel:WORD_1
	v_sub_f16_e32 v24, v14, v18
                                        ; implicit-def: $vgpr8
	v_bfi_b32 v12, 0xffff, v12, v20
.LBB0_19:
	s_andn2_saveexec_b32 s0, s5
	s_cbranch_execz .LBB0_21
; %bb.20:
	ds_read_u16 v12, v0 offset:4034
	s_waitcnt lgkmcnt(1)
	v_alignbit_b32 v4, s0, v8, 16
	v_mov_b32_e32 v24, 0
	v_pk_add_f16 v14, v4, v8
	v_sub_f16_sdwa v4, v8, v8 dst_sel:DWORD dst_unused:UNUSED_PAD src0_sel:DWORD src1_sel:WORD_1
	s_waitcnt lgkmcnt(0)
	v_xor_b32_e32 v8, 0x8000, v12
	v_pack_b32_f16 v12, v14, 0
	ds_write_b16 v0, v8 offset:4034
.LBB0_21:
	s_or_b32 exec_lo, exec_lo, s0
	s_waitcnt lgkmcnt(0)
	v_mov_b32_e32 v8, 0
	ds_write_b16 v23, v24 offset:8066
	v_lshlrev_b64 v[25:26], 2, v[7:8]
	v_mov_b32_e32 v22, v8
	v_mov_b32_e32 v20, v8
	;; [unrolled: 1-line block ×5, first 2 shown]
	v_add_co_u32 v25, s0, s1, v25
	v_add_co_ci_u32_e64 v26, s0, s4, v26, s0
	global_load_dword v7, v[25:26], off
	v_lshlrev_b64 v[25:26], 2, v[21:22]
	v_add_co_u32 v25, s0, s1, v25
	v_add_co_ci_u32_e64 v26, s0, s4, v26, s0
	global_load_dword v22, v[25:26], off
	v_lshlrev_b64 v[25:26], 2, v[19:20]
	v_lshl_add_u32 v19, v19, 2, v0
	v_add_co_u32 v25, s0, s1, v25
	v_add_co_ci_u32_e64 v26, s0, s4, v26, s0
	global_load_dword v20, v[25:26], off
	v_lshlrev_b64 v[25:26], 2, v[17:18]
	v_add_co_u32 v25, s0, s1, v25
	v_add_co_ci_u32_e64 v26, s0, s4, v26, s0
	global_load_dword v18, v[25:26], off
	v_lshlrev_b64 v[25:26], 2, v[15:16]
	v_lshl_add_u32 v15, v15, 2, v0
	v_add_co_u32 v25, s0, s1, v25
	v_add_co_ci_u32_e64 v26, s0, s4, v26, s0
	global_load_dword v16, v[25:26], off
	v_lshlrev_b64 v[24:25], 2, v[13:14]
	ds_write_b32 v10, v12
	ds_write_b16 v23, v4 offset:8064
	ds_read_b32 v4, v36
	ds_read_b32 v14, v23 offset:7616
	v_mov_b32_e32 v12, v8
	v_mov_b32_e32 v10, v8
	v_add_co_u32 v24, s0, s1, v24
	v_add_co_ci_u32_e64 v25, s0, s4, v25, s0
	v_lshlrev_b64 v[26:27], 2, v[9:10]
	v_lshl_add_u32 v9, v9, 2, v0
	global_load_dword v28, v[24:25], off
	v_lshlrev_b64 v[24:25], 2, v[11:12]
	v_lshl_add_u32 v11, v11, 2, v0
	v_add_co_u32 v24, s0, s1, v24
	s_waitcnt lgkmcnt(0)
	v_pk_add_f16 v10, v4, v14 neg_lo:[0,1] neg_hi:[0,1]
	v_pk_add_f16 v4, v4, v14
	v_add_co_ci_u32_e64 v25, s0, s4, v25, s0
	v_add_co_u32 v26, s0, s1, v26
	v_bfi_b32 v12, 0xffff, v10, v4
	v_add_co_ci_u32_e64 v27, s0, s4, v27, s0
	v_bfi_b32 v4, 0xffff, v4, v10
	v_pk_mul_f16 v10, v12, 0.5 op_sel_hi:[1,0]
	s_clause 0x1
	global_load_dword v12, v[24:25], off
	global_load_dword v14, v[26:27], off
	v_pk_mul_f16 v4, v4, 0.5 op_sel_hi:[1,0]
	s_waitcnt vmcnt(7)
	v_pk_fma_f16 v24, v7, v10, v4 op_sel:[1,0,0]
	v_pk_mul_f16 v25, v7, v10 op_sel_hi:[0,1]
	v_pk_fma_f16 v26, v7, v10, v4 op_sel:[1,0,0] neg_lo:[1,0,0] neg_hi:[1,0,0]
	v_pk_fma_f16 v4, v7, v10, v4 op_sel:[1,0,0] neg_lo:[0,0,1] neg_hi:[0,0,1]
	v_pk_add_f16 v7, v24, v25 op_sel:[0,1] op_sel_hi:[1,0]
	v_pk_add_f16 v10, v24, v25 op_sel:[0,1] op_sel_hi:[1,0] neg_lo:[0,1] neg_hi:[0,1]
	v_pk_add_f16 v24, v26, v25 op_sel:[0,1] op_sel_hi:[1,0] neg_lo:[0,1] neg_hi:[0,1]
	v_pk_add_f16 v4, v4, v25 op_sel:[0,1] op_sel_hi:[1,0] neg_lo:[0,1] neg_hi:[0,1]
	v_bfi_b32 v7, 0xffff, v7, v10
	v_lshl_add_u32 v10, v21, 2, v0
	v_bfi_b32 v4, 0xffff, v24, v4
	ds_write_b32 v36, v7
	ds_write_b32 v23, v4 offset:7616
	ds_read_b32 v4, v10
	ds_read_b32 v7, v23 offset:7168
	s_waitcnt lgkmcnt(0)
	v_pk_add_f16 v21, v4, v7 neg_lo:[0,1] neg_hi:[0,1]
	v_pk_add_f16 v4, v4, v7
	v_bfi_b32 v7, 0xffff, v21, v4
	v_bfi_b32 v4, 0xffff, v4, v21
	v_pk_mul_f16 v7, v7, 0.5 op_sel_hi:[1,0]
	v_pk_mul_f16 v4, v4, 0.5 op_sel_hi:[1,0]
	s_waitcnt vmcnt(6)
	v_pk_mul_f16 v24, v22, v7 op_sel_hi:[0,1]
	v_pk_fma_f16 v21, v22, v7, v4 op_sel:[1,0,0]
	v_pk_fma_f16 v25, v22, v7, v4 op_sel:[1,0,0] neg_lo:[1,0,0] neg_hi:[1,0,0]
	v_pk_fma_f16 v4, v22, v7, v4 op_sel:[1,0,0] neg_lo:[0,0,1] neg_hi:[0,0,1]
	v_pk_add_f16 v7, v21, v24 op_sel:[0,1] op_sel_hi:[1,0]
	v_pk_add_f16 v21, v21, v24 op_sel:[0,1] op_sel_hi:[1,0] neg_lo:[0,1] neg_hi:[0,1]
	v_pk_add_f16 v22, v25, v24 op_sel:[0,1] op_sel_hi:[1,0] neg_lo:[0,1] neg_hi:[0,1]
	v_pk_add_f16 v4, v4, v24 op_sel:[0,1] op_sel_hi:[1,0] neg_lo:[0,1] neg_hi:[0,1]
	v_bfi_b32 v7, 0xffff, v7, v21
	v_bfi_b32 v4, 0xffff, v22, v4
	ds_write_b32 v10, v7
	ds_write_b32 v23, v4 offset:7168
	ds_read_b32 v4, v19
	ds_read_b32 v7, v23 offset:6720
	s_waitcnt lgkmcnt(0)
	v_pk_add_f16 v10, v4, v7 neg_lo:[0,1] neg_hi:[0,1]
	v_pk_add_f16 v4, v4, v7
	v_bfi_b32 v7, 0xffff, v10, v4
	v_bfi_b32 v4, 0xffff, v4, v10
	v_pk_mul_f16 v7, v7, 0.5 op_sel_hi:[1,0]
	v_pk_mul_f16 v4, v4, 0.5 op_sel_hi:[1,0]
	s_waitcnt vmcnt(5)
	v_pk_mul_f16 v21, v20, v7 op_sel_hi:[0,1]
	v_pk_fma_f16 v10, v20, v7, v4 op_sel:[1,0,0]
	v_pk_fma_f16 v22, v20, v7, v4 op_sel:[1,0,0] neg_lo:[1,0,0] neg_hi:[1,0,0]
	v_pk_fma_f16 v4, v20, v7, v4 op_sel:[1,0,0] neg_lo:[0,0,1] neg_hi:[0,0,1]
	v_pk_add_f16 v7, v10, v21 op_sel:[0,1] op_sel_hi:[1,0]
	v_pk_add_f16 v10, v10, v21 op_sel:[0,1] op_sel_hi:[1,0] neg_lo:[0,1] neg_hi:[0,1]
	v_pk_add_f16 v20, v22, v21 op_sel:[0,1] op_sel_hi:[1,0] neg_lo:[0,1] neg_hi:[0,1]
	v_pk_add_f16 v4, v4, v21 op_sel:[0,1] op_sel_hi:[1,0] neg_lo:[0,1] neg_hi:[0,1]
	v_bfi_b32 v7, 0xffff, v7, v10
	v_lshl_add_u32 v10, v17, 2, v0
	v_bfi_b32 v4, 0xffff, v20, v4
	ds_write_b32 v19, v7
	ds_write_b32 v23, v4 offset:6720
	ds_read_b32 v4, v10
	ds_read_b32 v7, v23 offset:6272
	s_waitcnt lgkmcnt(0)
	v_pk_add_f16 v17, v4, v7 neg_lo:[0,1] neg_hi:[0,1]
	v_pk_add_f16 v4, v4, v7
	v_bfi_b32 v7, 0xffff, v17, v4
	v_bfi_b32 v4, 0xffff, v4, v17
	v_pk_mul_f16 v7, v7, 0.5 op_sel_hi:[1,0]
	v_pk_mul_f16 v4, v4, 0.5 op_sel_hi:[1,0]
	s_waitcnt vmcnt(4)
	v_pk_mul_f16 v19, v18, v7 op_sel_hi:[0,1]
	v_pk_fma_f16 v17, v18, v7, v4 op_sel:[1,0,0]
	v_pk_fma_f16 v20, v18, v7, v4 op_sel:[1,0,0] neg_lo:[1,0,0] neg_hi:[1,0,0]
	v_pk_fma_f16 v4, v18, v7, v4 op_sel:[1,0,0] neg_lo:[0,0,1] neg_hi:[0,0,1]
	v_pk_add_f16 v7, v17, v19 op_sel:[0,1] op_sel_hi:[1,0]
	v_pk_add_f16 v17, v17, v19 op_sel:[0,1] op_sel_hi:[1,0] neg_lo:[0,1] neg_hi:[0,1]
	v_pk_add_f16 v18, v20, v19 op_sel:[0,1] op_sel_hi:[1,0] neg_lo:[0,1] neg_hi:[0,1]
	v_pk_add_f16 v4, v4, v19 op_sel:[0,1] op_sel_hi:[1,0] neg_lo:[0,1] neg_hi:[0,1]
	v_bfi_b32 v7, 0xffff, v7, v17
	v_bfi_b32 v4, 0xffff, v18, v4
	ds_write_b32 v10, v7
	ds_write_b32 v23, v4 offset:6272
	ds_read_b32 v4, v15
	ds_read_b32 v7, v23 offset:5824
	s_waitcnt lgkmcnt(0)
	v_pk_add_f16 v10, v4, v7 neg_lo:[0,1] neg_hi:[0,1]
	v_pk_add_f16 v4, v4, v7
	v_bfi_b32 v7, 0xffff, v10, v4
	v_bfi_b32 v4, 0xffff, v4, v10
	v_pk_mul_f16 v7, v7, 0.5 op_sel_hi:[1,0]
	v_pk_mul_f16 v4, v4, 0.5 op_sel_hi:[1,0]
	s_waitcnt vmcnt(3)
	v_pk_mul_f16 v17, v16, v7 op_sel_hi:[0,1]
	v_pk_fma_f16 v10, v16, v7, v4 op_sel:[1,0,0]
	;; [unrolled: 45-line block ×3, first 2 shown]
	v_pk_fma_f16 v15, v12, v7, v4 op_sel:[1,0,0] neg_lo:[1,0,0] neg_hi:[1,0,0]
	v_pk_fma_f16 v4, v12, v7, v4 op_sel:[1,0,0] neg_lo:[0,0,1] neg_hi:[0,0,1]
	v_pk_add_f16 v7, v10, v13 op_sel:[0,1] op_sel_hi:[1,0]
	v_pk_add_f16 v10, v10, v13 op_sel:[0,1] op_sel_hi:[1,0] neg_lo:[0,1] neg_hi:[0,1]
	v_pk_add_f16 v12, v15, v13 op_sel:[0,1] op_sel_hi:[1,0] neg_lo:[0,1] neg_hi:[0,1]
	;; [unrolled: 1-line block ×3, first 2 shown]
	v_bfi_b32 v7, 0xffff, v7, v10
	v_bfi_b32 v4, 0xffff, v12, v4
	ds_write_b32 v11, v7
	ds_write_b32 v23, v4 offset:4928
	ds_read_b32 v4, v9
	ds_read_b32 v7, v23 offset:4480
	s_waitcnt lgkmcnt(0)
	v_pk_add_f16 v10, v4, v7 neg_lo:[0,1] neg_hi:[0,1]
	v_pk_add_f16 v4, v4, v7
	v_bfi_b32 v7, 0xffff, v10, v4
	v_bfi_b32 v4, 0xffff, v4, v10
	v_pk_mul_f16 v7, v7, 0.5 op_sel_hi:[1,0]
	v_pk_mul_f16 v4, v4, 0.5 op_sel_hi:[1,0]
	s_waitcnt vmcnt(0)
	v_pk_mul_f16 v11, v14, v7 op_sel_hi:[0,1]
	v_pk_fma_f16 v10, v14, v7, v4 op_sel:[1,0,0]
	v_pk_fma_f16 v12, v14, v7, v4 op_sel:[1,0,0] neg_lo:[1,0,0] neg_hi:[1,0,0]
	v_pk_fma_f16 v4, v14, v7, v4 op_sel:[1,0,0] neg_lo:[0,0,1] neg_hi:[0,0,1]
	v_pk_add_f16 v7, v10, v11 op_sel:[0,1] op_sel_hi:[1,0]
	v_pk_add_f16 v10, v10, v11 op_sel:[0,1] op_sel_hi:[1,0] neg_lo:[0,1] neg_hi:[0,1]
	v_pk_add_f16 v12, v12, v11 op_sel:[0,1] op_sel_hi:[1,0] neg_lo:[0,1] neg_hi:[0,1]
	;; [unrolled: 1-line block ×3, first 2 shown]
	v_bfi_b32 v7, 0xffff, v7, v10
	v_bfi_b32 v4, 0xffff, v12, v4
	ds_write_b32 v9, v7
	ds_write_b32 v23, v4 offset:4480
	s_waitcnt lgkmcnt(0)
	s_barrier
	buffer_gl0_inv
	s_and_saveexec_b32 s0, vcc_lo
	s_cbranch_execz .LBB0_24
; %bb.22:
	v_mul_lo_u32 v4, s3, v5
	v_mul_lo_u32 v7, s2, v6
	v_mad_u64_u32 v[5:6], null, s2, v5, 0
	v_lshl_add_u32 v0, v3, 2, v0
	v_lshlrev_b64 v[1:2], 2, v[1:2]
	ds_read2_b32 v[9:10], v0 offset1:112
	v_add3_u32 v6, v6, v7, v4
	v_mov_b32_e32 v4, v8
	v_add_nc_u32_e32 v7, 0x70, v3
	v_add_nc_u32_e32 v15, 0x600, v0
	v_lshlrev_b64 v[5:6], 2, v[5:6]
	v_lshlrev_b64 v[11:12], 2, v[3:4]
	;; [unrolled: 1-line block ×3, first 2 shown]
	v_add_nc_u32_e32 v7, 0xe0, v3
	v_add_co_u32 v4, vcc_lo, s10, v5
	v_add_co_ci_u32_e32 v5, vcc_lo, s11, v6, vcc_lo
	v_add_nc_u32_e32 v6, 0x200, v0
	v_add_co_u32 v1, vcc_lo, v4, v1
	v_add_co_ci_u32_e32 v2, vcc_lo, v5, v2, vcc_lo
	v_add_co_u32 v4, vcc_lo, v1, v11
	v_add_co_ci_u32_e32 v5, vcc_lo, v2, v12, vcc_lo
	;; [unrolled: 2-line block ×3, first 2 shown]
	v_lshlrev_b64 v[13:14], 2, v[7:8]
	v_add_nc_u32_e32 v7, 0x150, v3
	s_waitcnt lgkmcnt(0)
	global_store_dword v[4:5], v9, off
	global_store_dword v[11:12], v10, off
	ds_read2_b32 v[4:5], v6 offset0:96 offset1:208
	ds_read2_b32 v[11:12], v15 offset0:64 offset1:176
	v_add_nc_u32_e32 v6, 0xa00, v0
	v_lshlrev_b64 v[9:10], 2, v[7:8]
	v_add_nc_u32_e32 v7, 0x1c0, v3
	v_add_co_u32 v13, vcc_lo, v1, v13
	v_add_co_ci_u32_e32 v14, vcc_lo, v2, v14, vcc_lo
	v_lshlrev_b64 v[15:16], 2, v[7:8]
	v_add_co_u32 v9, vcc_lo, v1, v9
	v_add_co_ci_u32_e32 v10, vcc_lo, v2, v10, vcc_lo
	v_add_nc_u32_e32 v7, 0x230, v3
	v_add_co_u32 v15, vcc_lo, v1, v15
	v_add_co_ci_u32_e32 v16, vcc_lo, v2, v16, vcc_lo
	v_lshlrev_b64 v[17:18], 2, v[7:8]
	v_add_nc_u32_e32 v7, 0x2a0, v3
	s_waitcnt lgkmcnt(1)
	global_store_dword v[13:14], v4, off
	global_store_dword v[9:10], v5, off
	s_waitcnt lgkmcnt(0)
	global_store_dword v[15:16], v11, off
	ds_read2_b32 v[4:5], v6 offset0:32 offset1:144
	v_add_nc_u32_e32 v6, 0xc00, v0
	v_lshlrev_b64 v[9:10], 2, v[7:8]
	v_add_nc_u32_e32 v7, 0x310, v3
	v_add_co_u32 v13, vcc_lo, v1, v17
	v_add_co_ci_u32_e32 v14, vcc_lo, v2, v18, vcc_lo
	v_lshlrev_b64 v[15:16], 2, v[7:8]
	v_add_co_u32 v9, vcc_lo, v1, v9
	v_add_co_ci_u32_e32 v10, vcc_lo, v2, v10, vcc_lo
	v_add_nc_u32_e32 v7, 0x380, v3
	v_add_co_u32 v15, vcc_lo, v1, v15
	v_add_co_ci_u32_e32 v16, vcc_lo, v2, v16, vcc_lo
	v_lshlrev_b64 v[17:18], 2, v[7:8]
	v_add_nc_u32_e32 v7, 0x3f0, v3
	global_store_dword v[13:14], v12, off
	s_waitcnt lgkmcnt(0)
	global_store_dword v[9:10], v4, off
	global_store_dword v[15:16], v5, off
	ds_read2_b32 v[4:5], v6 offset0:128 offset1:240
	v_add_nc_u32_e32 v6, 0x1000, v0
	v_lshlrev_b64 v[9:10], 2, v[7:8]
	v_add_nc_u32_e32 v7, 0x460, v3
	v_add_co_u32 v11, vcc_lo, v1, v17
	ds_read2_b32 v[13:14], v6 offset0:96 offset1:208
	v_add_nc_u32_e32 v6, 0x1400, v0
	v_lshlrev_b64 v[15:16], 2, v[7:8]
	v_add_nc_u32_e32 v7, 0x4d0, v3
	v_add_co_ci_u32_e32 v12, vcc_lo, v2, v18, vcc_lo
	v_add_co_u32 v9, vcc_lo, v1, v9
	v_lshlrev_b64 v[17:18], 2, v[7:8]
	v_add_nc_u32_e32 v7, 0x540, v3
	ds_read2_b32 v[19:20], v6 offset0:64 offset1:176
	v_add_co_ci_u32_e32 v10, vcc_lo, v2, v10, vcc_lo
	v_add_co_u32 v15, vcc_lo, v1, v15
	v_add_co_ci_u32_e32 v16, vcc_lo, v2, v16, vcc_lo
	v_lshlrev_b64 v[21:22], 2, v[7:8]
	v_add_nc_u32_e32 v7, 0x5b0, v3
	v_add_co_u32 v17, vcc_lo, v1, v17
	v_add_co_ci_u32_e32 v18, vcc_lo, v2, v18, vcc_lo
	s_waitcnt lgkmcnt(2)
	global_store_dword v[11:12], v4, off
	global_store_dword v[9:10], v5, off
	s_waitcnt lgkmcnt(1)
	global_store_dword v[15:16], v13, off
	global_store_dword v[17:18], v14, off
	v_lshlrev_b64 v[4:5], 2, v[7:8]
	v_add_nc_u32_e32 v7, 0x620, v3
	v_add_co_u32 v9, vcc_lo, v1, v21
	v_add_co_ci_u32_e32 v10, vcc_lo, v2, v22, vcc_lo
	v_lshlrev_b64 v[11:12], 2, v[7:8]
	v_add_nc_u32_e32 v7, 0x690, v3
	v_add_co_u32 v4, vcc_lo, v1, v4
	v_add_co_ci_u32_e32 v5, vcc_lo, v2, v5, vcc_lo
	v_add_nc_u32_e32 v6, 0x1800, v0
	s_waitcnt lgkmcnt(0)
	global_store_dword v[9:10], v19, off
	v_lshlrev_b64 v[9:10], 2, v[7:8]
	v_add_nc_u32_e32 v7, 0x700, v3
	v_add_nc_u32_e32 v13, 0x1c00, v0
	global_store_dword v[4:5], v20, off
	ds_read2_b32 v[4:5], v6 offset0:32 offset1:144
	v_add_co_u32 v11, vcc_lo, v1, v11
	v_lshlrev_b64 v[15:16], 2, v[7:8]
	v_add_nc_u32_e32 v7, 0x770, v3
	ds_read2_b32 v[13:14], v13 offset1:112
	v_add_co_ci_u32_e32 v12, vcc_lo, v2, v12, vcc_lo
	v_add_co_u32 v9, vcc_lo, v1, v9
	v_lshlrev_b64 v[6:7], 2, v[7:8]
	v_add_co_ci_u32_e32 v10, vcc_lo, v2, v10, vcc_lo
	v_add_co_u32 v15, vcc_lo, v1, v15
	v_add_co_ci_u32_e32 v16, vcc_lo, v2, v16, vcc_lo
	v_add_co_u32 v6, vcc_lo, v1, v6
	v_add_co_ci_u32_e32 v7, vcc_lo, v2, v7, vcc_lo
	v_cmp_eq_u32_e32 vcc_lo, 0x6f, v3
	s_waitcnt lgkmcnt(1)
	global_store_dword v[11:12], v4, off
	global_store_dword v[9:10], v5, off
	s_waitcnt lgkmcnt(0)
	global_store_dword v[15:16], v13, off
	global_store_dword v[6:7], v14, off
	s_and_b32 exec_lo, exec_lo, vcc_lo
	s_cbranch_execz .LBB0_24
; %bb.23:
	ds_read_b32 v3, v0 offset:7620
	v_add_co_u32 v0, vcc_lo, 0x1800, v1
	v_add_co_ci_u32_e32 v1, vcc_lo, 0, v2, vcc_lo
	s_waitcnt lgkmcnt(0)
	global_store_dword v[0:1], v3, off offset:1920
.LBB0_24:
	s_endpgm
	.section	.rodata,"a",@progbits
	.p2align	6, 0x0
	.amdhsa_kernel fft_rtc_back_len2016_factors_2_2_2_2_2_3_3_7_wgs_224_tpt_112_halfLds_half_op_CI_CI_unitstride_sbrr_R2C_dirReg
		.amdhsa_group_segment_fixed_size 0
		.amdhsa_private_segment_fixed_size 0
		.amdhsa_kernarg_size 104
		.amdhsa_user_sgpr_count 6
		.amdhsa_user_sgpr_private_segment_buffer 1
		.amdhsa_user_sgpr_dispatch_ptr 0
		.amdhsa_user_sgpr_queue_ptr 0
		.amdhsa_user_sgpr_kernarg_segment_ptr 1
		.amdhsa_user_sgpr_dispatch_id 0
		.amdhsa_user_sgpr_flat_scratch_init 0
		.amdhsa_user_sgpr_private_segment_size 0
		.amdhsa_wavefront_size32 1
		.amdhsa_uses_dynamic_stack 0
		.amdhsa_system_sgpr_private_segment_wavefront_offset 0
		.amdhsa_system_sgpr_workgroup_id_x 1
		.amdhsa_system_sgpr_workgroup_id_y 0
		.amdhsa_system_sgpr_workgroup_id_z 0
		.amdhsa_system_sgpr_workgroup_info 0
		.amdhsa_system_vgpr_workitem_id 0
		.amdhsa_next_free_vgpr 86
		.amdhsa_next_free_sgpr 27
		.amdhsa_reserve_vcc 1
		.amdhsa_reserve_flat_scratch 0
		.amdhsa_float_round_mode_32 0
		.amdhsa_float_round_mode_16_64 0
		.amdhsa_float_denorm_mode_32 3
		.amdhsa_float_denorm_mode_16_64 3
		.amdhsa_dx10_clamp 1
		.amdhsa_ieee_mode 1
		.amdhsa_fp16_overflow 0
		.amdhsa_workgroup_processor_mode 1
		.amdhsa_memory_ordered 1
		.amdhsa_forward_progress 0
		.amdhsa_shared_vgpr_count 0
		.amdhsa_exception_fp_ieee_invalid_op 0
		.amdhsa_exception_fp_denorm_src 0
		.amdhsa_exception_fp_ieee_div_zero 0
		.amdhsa_exception_fp_ieee_overflow 0
		.amdhsa_exception_fp_ieee_underflow 0
		.amdhsa_exception_fp_ieee_inexact 0
		.amdhsa_exception_int_div_zero 0
	.end_amdhsa_kernel
	.text
.Lfunc_end0:
	.size	fft_rtc_back_len2016_factors_2_2_2_2_2_3_3_7_wgs_224_tpt_112_halfLds_half_op_CI_CI_unitstride_sbrr_R2C_dirReg, .Lfunc_end0-fft_rtc_back_len2016_factors_2_2_2_2_2_3_3_7_wgs_224_tpt_112_halfLds_half_op_CI_CI_unitstride_sbrr_R2C_dirReg
                                        ; -- End function
	.section	.AMDGPU.csdata,"",@progbits
; Kernel info:
; codeLenInByte = 15060
; NumSgprs: 29
; NumVgprs: 86
; ScratchSize: 0
; MemoryBound: 0
; FloatMode: 240
; IeeeMode: 1
; LDSByteSize: 0 bytes/workgroup (compile time only)
; SGPRBlocks: 3
; VGPRBlocks: 10
; NumSGPRsForWavesPerEU: 29
; NumVGPRsForWavesPerEU: 86
; Occupancy: 10
; WaveLimiterHint : 1
; COMPUTE_PGM_RSRC2:SCRATCH_EN: 0
; COMPUTE_PGM_RSRC2:USER_SGPR: 6
; COMPUTE_PGM_RSRC2:TRAP_HANDLER: 0
; COMPUTE_PGM_RSRC2:TGID_X_EN: 1
; COMPUTE_PGM_RSRC2:TGID_Y_EN: 0
; COMPUTE_PGM_RSRC2:TGID_Z_EN: 0
; COMPUTE_PGM_RSRC2:TIDIG_COMP_CNT: 0
	.text
	.p2alignl 6, 3214868480
	.fill 48, 4, 3214868480
	.type	__hip_cuid_10ed8171a241a91d,@object ; @__hip_cuid_10ed8171a241a91d
	.section	.bss,"aw",@nobits
	.globl	__hip_cuid_10ed8171a241a91d
__hip_cuid_10ed8171a241a91d:
	.byte	0                               ; 0x0
	.size	__hip_cuid_10ed8171a241a91d, 1

	.ident	"AMD clang version 19.0.0git (https://github.com/RadeonOpenCompute/llvm-project roc-6.4.0 25133 c7fe45cf4b819c5991fe208aaa96edf142730f1d)"
	.section	".note.GNU-stack","",@progbits
	.addrsig
	.addrsig_sym __hip_cuid_10ed8171a241a91d
	.amdgpu_metadata
---
amdhsa.kernels:
  - .args:
      - .actual_access:  read_only
        .address_space:  global
        .offset:         0
        .size:           8
        .value_kind:     global_buffer
      - .offset:         8
        .size:           8
        .value_kind:     by_value
      - .actual_access:  read_only
        .address_space:  global
        .offset:         16
        .size:           8
        .value_kind:     global_buffer
      - .actual_access:  read_only
        .address_space:  global
        .offset:         24
        .size:           8
        .value_kind:     global_buffer
      - .actual_access:  read_only
        .address_space:  global
        .offset:         32
        .size:           8
        .value_kind:     global_buffer
      - .offset:         40
        .size:           8
        .value_kind:     by_value
      - .actual_access:  read_only
        .address_space:  global
        .offset:         48
        .size:           8
        .value_kind:     global_buffer
      - .actual_access:  read_only
        .address_space:  global
        .offset:         56
        .size:           8
        .value_kind:     global_buffer
      - .offset:         64
        .size:           4
        .value_kind:     by_value
      - .actual_access:  read_only
        .address_space:  global
        .offset:         72
        .size:           8
        .value_kind:     global_buffer
      - .actual_access:  read_only
        .address_space:  global
        .offset:         80
        .size:           8
        .value_kind:     global_buffer
      - .actual_access:  read_only
        .address_space:  global
        .offset:         88
        .size:           8
        .value_kind:     global_buffer
      - .actual_access:  write_only
        .address_space:  global
        .offset:         96
        .size:           8
        .value_kind:     global_buffer
    .group_segment_fixed_size: 0
    .kernarg_segment_align: 8
    .kernarg_segment_size: 104
    .language:       OpenCL C
    .language_version:
      - 2
      - 0
    .max_flat_workgroup_size: 224
    .name:           fft_rtc_back_len2016_factors_2_2_2_2_2_3_3_7_wgs_224_tpt_112_halfLds_half_op_CI_CI_unitstride_sbrr_R2C_dirReg
    .private_segment_fixed_size: 0
    .sgpr_count:     29
    .sgpr_spill_count: 0
    .symbol:         fft_rtc_back_len2016_factors_2_2_2_2_2_3_3_7_wgs_224_tpt_112_halfLds_half_op_CI_CI_unitstride_sbrr_R2C_dirReg.kd
    .uniform_work_group_size: 1
    .uses_dynamic_stack: false
    .vgpr_count:     86
    .vgpr_spill_count: 0
    .wavefront_size: 32
    .workgroup_processor_mode: 1
amdhsa.target:   amdgcn-amd-amdhsa--gfx1030
amdhsa.version:
  - 1
  - 2
...

	.end_amdgpu_metadata
